;; amdgpu-corpus repo=ROCm/rocFFT kind=compiled arch=gfx950 opt=O3
	.text
	.amdgcn_target "amdgcn-amd-amdhsa--gfx950"
	.amdhsa_code_object_version 6
	.protected	bluestein_single_back_len39_dim1_sp_op_CI_CI ; -- Begin function bluestein_single_back_len39_dim1_sp_op_CI_CI
	.globl	bluestein_single_back_len39_dim1_sp_op_CI_CI
	.p2align	8
	.type	bluestein_single_back_len39_dim1_sp_op_CI_CI,@function
bluestein_single_back_len39_dim1_sp_op_CI_CI: ; @bluestein_single_back_len39_dim1_sp_op_CI_CI
; %bb.0:
	s_load_dwordx4 s[8:11], s[0:1], 0x28
	v_mul_u32_u24_e32 v1, 0x13b2, v0
	v_lshrrev_b32_e32 v2, 16, v1
	v_mad_u64_u32 v[44:45], s[2:3], s2, 19, v[2:3]
	v_mov_b32_e32 v45, 0
	s_waitcnt lgkmcnt(0)
	v_cmp_gt_u64_e32 vcc, s[8:9], v[44:45]
	s_and_saveexec_b64 s[2:3], vcc
	s_cbranch_execz .LBB0_15
; %bb.1:
	v_mul_lo_u16_e32 v1, 13, v2
	s_mov_b32 s2, 0xaf286bcb
	v_sub_u16_e32 v117, v0, v1
	v_mul_hi_u32 v0, v44, s2
	v_sub_u32_e32 v1, v44, v0
	v_lshrrev_b32_e32 v1, 1, v1
	v_add_u32_e32 v0, v1, v0
	s_load_dwordx2 s[8:9], s[0:1], 0x0
	s_load_dwordx2 s[12:13], s[0:1], 0x38
	v_lshrrev_b32_e32 v0, 4, v0
	v_mul_lo_u32 v0, v0, 19
	v_sub_u32_e32 v0, v44, v0
	v_mul_u32_u24_e32 v118, 39, v0
	v_cmp_gt_u16_e32 vcc, 3, v117
	v_lshlrev_b32_e32 v115, 3, v117
	v_lshlrev_b32_e32 v119, 3, v118
	v_or_b32_e32 v116, 12, v117
	v_or_b32_e32 v114, 24, v117
	;; [unrolled: 1-line block ×3, first 2 shown]
	s_and_saveexec_b64 s[2:3], vcc
	s_cbranch_execz .LBB0_3
; %bb.2:
	s_load_dwordx2 s[4:5], s[0:1], 0x18
	v_mov_b32_e32 v0, s10
	v_mov_b32_e32 v1, s11
	s_waitcnt lgkmcnt(0)
	s_load_dwordx4 s[4:7], s[4:5], 0x0
	s_waitcnt lgkmcnt(0)
	v_mad_u64_u32 v[2:3], s[10:11], s6, v44, 0
	v_mad_u64_u32 v[4:5], s[10:11], s4, v117, 0
	v_mov_b32_e32 v6, v3
	v_mov_b32_e32 v8, v5
	v_mad_u64_u32 v[6:7], s[6:7], s7, v44, v[6:7]
	v_mov_b32_e32 v3, v6
	v_mad_u64_u32 v[6:7], s[6:7], s5, v117, v[8:9]
	v_mad_u64_u32 v[30:31], s[6:7], s4, v116, 0
	v_mov_b32_e32 v5, v6
	v_lshl_add_u64 v[0:1], v[2:3], 3, v[0:1]
	v_mov_b32_e32 v36, v31
	v_lshl_add_u64 v[2:3], v[4:5], 3, v[0:1]
	v_mad_u64_u32 v[32:33], s[6:7], s4, v114, 0
	v_mad_u64_u32 v[36:37], s[6:7], s5, v116, v[36:37]
	global_load_dwordx2 v[4:5], v[2:3], off
	global_load_dwordx2 v[6:7], v115, s[8:9]
	global_load_dwordx2 v[8:9], v115, s[8:9] offset:24
	global_load_dwordx2 v[10:11], v115, s[8:9] offset:48
	;; [unrolled: 1-line block ×11, first 2 shown]
	s_mul_i32 s10, s5, 24
	v_mad_u64_u32 v[2:3], s[6:7], s4, 24, v[2:3]
	v_mov_b32_e32 v40, v33
	v_mov_b32_e32 v31, v36
	v_add_u32_e32 v3, s10, v3
	v_lshl_add_u64 v[30:31], v[30:31], 3, v[0:1]
	v_mad_u64_u32 v[40:41], s[6:7], s5, v114, v[40:41]
	global_load_dwordx2 v[38:39], v[2:3], off
	v_mov_b32_e32 v33, v40
	global_load_dwordx2 v[30:31], v[30:31], off
	v_mad_u64_u32 v[2:3], s[6:7], s4, 24, v[2:3]
	v_add_u32_e32 v3, s10, v3
	v_lshl_add_u64 v[32:33], v[32:33], 3, v[0:1]
	global_load_dwordx2 v[42:43], v[2:3], off
	s_mul_i32 s11, s5, 48
	global_load_dwordx2 v[32:33], v[32:33], off
	v_mad_u64_u32 v[2:3], s[6:7], s4, 24, v[2:3]
	v_add_u32_e32 v3, s10, v3
	global_load_dwordx2 v[46:47], v[2:3], off
	v_mad_u64_u32 v[2:3], s[6:7], s4, 48, v[2:3]
	v_add_u32_e32 v3, s11, v3
	;; [unrolled: 3-line block ×5, first 2 shown]
	v_mad_u64_u32 v[34:35], s[6:7], s4, v45, 0
	global_load_dwordx2 v[40:41], v[2:3], off
	v_mad_u64_u32 v[2:3], s[6:7], s4, 24, v[2:3]
	v_mov_b32_e32 v36, v35
	v_add_u32_e32 v3, s10, v3
	global_load_dwordx2 v[54:55], v[2:3], off
	v_mad_u64_u32 v[36:37], s[6:7], s5, v45, v[36:37]
	v_mad_u64_u32 v[2:3], s[4:5], s4, 24, v[2:3]
	v_add_u32_e32 v3, s10, v3
	global_load_dwordx2 v[2:3], v[2:3], off
	v_mov_b32_e32 v35, v36
	v_lshl_add_u64 v[0:1], v[34:35], 3, v[0:1]
	global_load_dwordx2 v[34:35], v115, s[8:9] offset:288
	global_load_dwordx2 v[36:37], v[0:1], off
	s_waitcnt vmcnt(24)
	v_mul_f32_e32 v1, v4, v7
	v_mul_f32_e32 v0, v5, v7
	v_fma_f32 v1, v5, v6, -v1
	v_fmac_f32_e32 v0, v4, v6
	v_lshl_add_u32 v4, v117, 3, v119
	ds_write_b64 v4, v[0:1]
	v_add_u32_e32 v6, v119, v115
	s_waitcnt vmcnt(12)
	v_mul_f32_e32 v0, v39, v9
	v_mul_f32_e32 v1, v38, v9
	v_fmac_f32_e32 v0, v38, v8
	v_fma_f32 v1, v39, v8, -v1
	s_waitcnt vmcnt(10)
	v_mul_f32_e32 v4, v43, v11
	v_mul_f32_e32 v5, v42, v11
	v_fmac_f32_e32 v4, v42, v10
	v_fma_f32 v5, v43, v10, -v5
	ds_write2_b64 v6, v[0:1], v[4:5] offset0:3 offset1:6
	v_mul_f32_e32 v4, v31, v15
	s_waitcnt vmcnt(8)
	v_mul_f32_e32 v0, v47, v13
	v_mul_f32_e32 v1, v46, v13
	;; [unrolled: 1-line block ×3, first 2 shown]
	v_fmac_f32_e32 v0, v46, v12
	v_fma_f32 v1, v47, v12, -v1
	v_fmac_f32_e32 v4, v30, v14
	v_fma_f32 v5, v31, v14, -v5
	ds_write2_b64 v6, v[0:1], v[4:5] offset0:9 offset1:12
	s_waitcnt vmcnt(7)
	v_mul_f32_e32 v0, v49, v17
	v_mul_f32_e32 v1, v48, v17
	s_waitcnt vmcnt(6)
	v_mul_f32_e32 v4, v51, v19
	v_mul_f32_e32 v5, v50, v19
	v_fmac_f32_e32 v0, v48, v16
	v_fma_f32 v1, v49, v16, -v1
	v_fmac_f32_e32 v4, v50, v18
	v_fma_f32 v5, v51, v18, -v5
	ds_write2_b64 v6, v[0:1], v[4:5] offset0:15 offset1:18
	s_waitcnt vmcnt(5)
	v_mul_f32_e32 v0, v53, v21
	v_mul_f32_e32 v1, v52, v21
	;; [unrolled: 1-line block ×4, first 2 shown]
	v_fmac_f32_e32 v0, v52, v20
	v_fma_f32 v1, v53, v20, -v1
	v_fmac_f32_e32 v4, v32, v22
	v_fma_f32 v5, v33, v22, -v5
	ds_write2_b64 v6, v[0:1], v[4:5] offset0:21 offset1:24
	s_waitcnt vmcnt(4)
	v_mul_f32_e32 v0, v41, v25
	v_mul_f32_e32 v1, v40, v25
	s_waitcnt vmcnt(3)
	v_mul_f32_e32 v4, v55, v27
	v_mul_f32_e32 v5, v54, v27
	v_fmac_f32_e32 v0, v40, v24
	v_fma_f32 v1, v41, v24, -v1
	v_fmac_f32_e32 v4, v54, v26
	v_fma_f32 v5, v55, v26, -v5
	ds_write2_b64 v6, v[0:1], v[4:5] offset0:27 offset1:30
	s_waitcnt vmcnt(2)
	v_mul_f32_e32 v0, v3, v29
	v_mul_f32_e32 v1, v2, v29
	v_fmac_f32_e32 v0, v2, v28
	v_fma_f32 v1, v3, v28, -v1
	s_waitcnt vmcnt(0)
	v_mul_f32_e32 v2, v37, v35
	v_mul_f32_e32 v3, v36, v35
	v_fmac_f32_e32 v2, v36, v34
	v_fma_f32 v3, v37, v34, -v3
	ds_write2_b64 v6, v[0:1], v[2:3] offset0:33 offset1:36
.LBB0_3:
	s_or_b64 exec, exec, s[2:3]
	s_load_dwordx2 s[2:3], s[0:1], 0x20
	s_load_dwordx2 s[4:5], s[0:1], 0x8
	v_mov_b64_e32 v[0:1], 0
	s_waitcnt lgkmcnt(0)
	s_barrier
	s_waitcnt lgkmcnt(0)
                                        ; implicit-def: $vgpr4
                                        ; implicit-def: $vgpr10
                                        ; implicit-def: $vgpr40
                                        ; implicit-def: $vgpr14
                                        ; implicit-def: $vgpr18
                                        ; implicit-def: $vgpr22
	s_and_saveexec_b64 s[0:1], vcc
	s_cbranch_execz .LBB0_5
; %bb.4:
	v_lshl_add_u32 v24, v118, 3, v115
	ds_read2_b64 v[0:3], v24 offset1:3
	ds_read2_b64 v[8:11], v24 offset0:6 offset1:9
	ds_read2_b64 v[4:7], v24 offset0:30 offset1:33
	;; [unrolled: 1-line block ×5, first 2 shown]
	ds_read_b64 v[40:41], v24 offset:288
.LBB0_5:
	s_or_b64 exec, exec, s[0:1]
	s_mov_b32 s10, 0x3f52af12
	s_waitcnt lgkmcnt(0)
	v_pk_add_f32 v[32:33], v[2:3], v[40:41] neg_lo:[0,1] neg_hi:[0,1]
	s_mov_b32 s11, 0x3f116cb1
	s_mov_b32 s28, 0xbf52af12
	v_pk_add_f32 v[28:29], v[40:41], v[2:3]
	v_pk_add_f32 v[30:31], v[8:9], v[6:7] neg_lo:[0,1] neg_hi:[0,1]
	s_mov_b32 s14, s11
	v_pk_mul_f32 v[26:27], v[32:33], s[28:29] op_sel_hi:[1,0]
	s_mov_b32 s0, 0xbf6f5d39
	v_pk_add_f32 v[42:43], v[6:7], v[8:9]
	v_pk_fma_f32 v[46:47], v[28:29], s[14:15], v[26:27] op_sel:[0,0,1] op_sel_hi:[1,0,0]
	v_pk_fma_f32 v[48:49], v[28:29], s[14:15], v[26:27] op_sel:[0,0,1] op_sel_hi:[1,0,0] neg_lo:[0,0,1] neg_hi:[0,0,1]
	s_mov_b32 s18, 0xbeb58ec6
	v_pk_mul_f32 v[38:39], v[30:31], s[0:1] op_sel:[1,0] op_sel_hi:[0,0]
	v_mov_b32_e32 v26, v46
	v_mov_b32_e32 v27, v49
	v_pk_fma_f32 v[52:53], v[42:43], s[18:19], v[38:39] op_sel_hi:[1,0,1]
	v_pk_fma_f32 v[54:55], v[42:43], s[18:19], v[38:39] op_sel_hi:[1,0,1] neg_lo:[0,0,1] neg_hi:[0,0,1]
	v_pk_add_f32 v[24:25], v[10:11], v[4:5] neg_lo:[0,1] neg_hi:[0,1]
	v_pk_add_f32 v[26:27], v[26:27], v[0:1]
	v_mov_b32_e32 v38, v52
	v_mov_b32_e32 v39, v55
	s_mov_b32 s6, 0xbe750f2a
	v_pk_add_f32 v[34:35], v[4:5], v[10:11]
	v_pk_add_f32 v[26:27], v[38:39], v[26:27]
	s_mov_b32 s16, 0xbf788fa5
	v_pk_mul_f32 v[38:39], v[24:25], s[6:7] op_sel:[1,0] op_sel_hi:[0,0]
	v_pk_fma_f32 v[56:57], v[34:35], s[16:17], v[38:39] op_sel_hi:[1,0,1]
	v_pk_fma_f32 v[58:59], v[34:35], s[16:17], v[38:39] op_sel_hi:[1,0,1] neg_lo:[0,0,1] neg_hi:[0,0,1]
	s_mov_b32 s20, 0xbf29c268
	v_pk_add_f32 v[36:37], v[20:21], v[14:15] neg_lo:[0,1] neg_hi:[0,1]
	v_pk_add_f32 v[50:51], v[20:21], v[14:15]
	v_mov_b32_e32 v38, v56
	v_mov_b32_e32 v39, v59
	s_mov_b32 s24, 0xbf3f9e67
	v_pk_mul_f32 v[60:61], v[24:25], s[20:21] op_sel:[1,0] op_sel_hi:[0,0]
	s_mov_b32 s22, 0x3f29c268
	v_pk_add_f32 v[26:27], v[38:39], v[26:27]
	v_mov_b32_e32 v66, v50
	v_mov_b32_e32 v67, v36
	v_pk_fma_f32 v[38:39], v[34:35], s[24:25], v[60:61] op_sel_hi:[1,0,1] neg_lo:[0,0,1] neg_hi:[0,0,1]
	v_pk_fma_f32 v[64:65], v[34:35], s[24:25], v[60:61] op_sel_hi:[1,0,1]
	s_mov_b32 s25, s22
	v_mov_b32_e32 v50, v37
	s_mov_b32 s23, s24
	v_pk_mul_f32 v[62:63], v[66:67], s[24:25]
	v_pk_add_f32 v[76:77], v[22:23], v[12:13] neg_lo:[0,1] neg_hi:[0,1]
	v_pk_fma_f32 v[60:61], v[50:51], s[22:23], v[62:63]
	v_pk_fma_f32 v[68:69], v[50:51], s[22:23], v[62:63] neg_lo:[0,0,1] neg_hi:[0,0,1]
	s_mov_b32 s30, 0x3df6dbef
	v_mov_b32_e32 v68, v60
	v_pk_add_f32 v[26:27], v[68:69], v[26:27]
	v_pk_add_f32 v[68:69], v[22:23], v[12:13]
	s_mov_b32 s26, 0x3f7e222b
	v_mov_b32_e32 v70, v68
	v_mov_b32_e32 v71, v76
	s_mov_b32 s34, s30
	s_mov_b32 s35, s26
	v_mov_b32_e32 v68, v77
	v_pk_mul_f32 v[100:101], v[30:31], s[26:27] op_sel:[1,0] op_sel_hi:[0,0]
	s_mov_b32 s27, s30
	v_pk_mul_f32 v[74:75], v[70:71], s[34:35]
	s_mov_b32 s42, 0xbf7e222b
	v_pk_fma_f32 v[72:73], v[68:69], s[26:27], v[74:75]
	v_pk_fma_f32 v[78:79], v[68:69], s[26:27], v[74:75] neg_lo:[0,0,1] neg_hi:[0,0,1]
	v_pk_mul_f32 v[80:81], v[24:25], s[42:43] op_sel:[1,0] op_sel_hi:[0,0]
	v_mov_b32_e32 v78, v72
	v_pk_add_f32 v[26:27], v[78:79], v[26:27]
	v_pk_mul_f32 v[78:79], v[30:31], s[6:7] op_sel:[1,0] op_sel_hi:[0,0]
	s_mov_b32 s43, s30
	v_pk_fma_f32 v[84:85], v[42:43], s[16:17], v[78:79] op_sel_hi:[1,0,1]
	v_pk_fma_f32 v[82:83], v[42:43], s[16:17], v[78:79] op_sel_hi:[1,0,1] neg_lo:[0,0,1] neg_hi:[0,0,1]
	v_pk_fma_f32 v[78:79], v[34:35], s[30:31], v[80:81] op_sel_hi:[1,0,1]
	v_pk_fma_f32 v[80:81], v[34:35], s[30:31], v[80:81] op_sel_hi:[1,0,1] neg_lo:[0,0,1] neg_hi:[0,0,1]
	s_mov_b32 s31, s42
	v_pk_mul_f32 v[88:89], v[32:33], s[42:43] op_sel_hi:[1,0]
	v_mov_b32_e32 v86, v84
	v_pk_fma_f32 v[94:95], v[28:29], s[30:31], v[88:89] op_sel:[0,0,1] op_sel_hi:[1,0,0] neg_lo:[0,0,1] neg_hi:[0,0,1]
	v_pk_fma_f32 v[88:89], v[28:29], s[30:31], v[88:89] op_sel:[0,0,1] op_sel_hi:[1,0,0]
	v_mov_b32_e32 v87, v83
	v_mov_b32_e32 v97, v89
	;; [unrolled: 1-line block ×3, first 2 shown]
	v_pk_add_f32 v[88:89], v[88:89], v[0:1]
	s_mov_b32 s36, 0x3f6f5d39
	v_pk_add_f32 v[86:87], v[86:87], v[88:89]
	v_pk_mul_f32 v[88:89], v[24:25], s[36:37] op_sel:[1,0] op_sel_hi:[0,0]
	v_pk_fma_f32 v[120:121], v[34:35], s[18:19], v[88:89] op_sel_hi:[1,0,1]
	v_pk_fma_f32 v[122:123], v[34:35], s[18:19], v[88:89] op_sel_hi:[1,0,1] neg_lo:[0,0,1] neg_hi:[0,0,1]
	v_mov_b32_e32 v88, v120
	v_mov_b32_e32 v89, v123
	s_mov_b32 s36, 0xbeedf032
	v_pk_add_f32 v[90:91], v[88:89], v[86:87]
	v_pk_mul_f32 v[88:89], v[32:33], s[36:37] op_sel_hi:[1,0]
	s_mov_b32 s36, 0x3eedf032
	s_mov_b32 s38, 0x3f62ad3f
	v_pk_mul_f32 v[92:93], v[24:25], s[36:37] op_sel:[1,0] op_sel_hi:[0,0]
	v_pk_fma_f32 v[102:103], v[34:35], s[38:39], v[92:93] op_sel_hi:[1,0,1]
	v_pk_fma_f32 v[104:105], v[34:35], s[38:39], v[92:93] op_sel_hi:[1,0,1] neg_lo:[0,0,1] neg_hi:[0,0,1]
	v_pk_mul_f32 v[92:93], v[30:31], s[36:37] op_sel:[1,0] op_sel_hi:[0,0]
	s_mov_b32 s37, s38
	v_pk_fma_f32 v[86:87], v[28:29], s[38:39], v[88:89] op_sel:[0,0,1] op_sel_hi:[1,0,0]
	v_pk_fma_f32 v[88:89], v[28:29], s[38:39], v[88:89] op_sel:[0,0,1] op_sel_hi:[1,0,0] neg_lo:[0,0,1] neg_hi:[0,0,1]
	v_pk_fma_f32 v[106:107], v[42:43], s[38:39], v[92:93] op_sel_hi:[1,0,1] neg_lo:[0,0,1] neg_hi:[0,0,1]
	v_pk_fma_f32 v[108:109], v[42:43], s[38:39], v[92:93] op_sel_hi:[1,0,1]
	s_mov_b32 s39, s36
	v_pk_mul_f32 v[124:125], v[50:51], s[36:37]
	v_pk_mul_f32 v[110:111], v[24:25], s[28:29] op_sel:[1,0] op_sel_hi:[0,0]
	v_pk_mul_f32 v[112:113], v[30:31], s[28:29] op_sel:[1,0] op_sel_hi:[0,0]
	s_mov_b32 s29, s11
	v_pk_fma_f32 v[126:127], v[66:67], s[38:39], v[124:125]
	v_pk_fma_f32 v[92:93], v[66:67], s[38:39], v[124:125] neg_lo:[1,0,0] neg_hi:[1,0,0]
	s_mov_b32 s40, s11
	s_mov_b32 s41, s28
	v_pk_mul_f32 v[128:129], v[68:69], s[28:29]
	v_mov_b32_e32 v92, v126
	v_pk_fma_f32 v[130:131], v[70:71], s[40:41], v[128:129]
	v_pk_fma_f32 v[24:25], v[70:71], s[40:41], v[128:129] neg_lo:[1,0,0] neg_hi:[1,0,0]
	v_pk_add_f32 v[90:91], v[92:93], v[90:91]
	v_mov_b32_e32 v24, v130
	v_pk_add_f32 v[24:25], v[24:25], v[90:91]
	v_pk_add_f32 v[132:133], v[16:17], v[18:19] neg_lo:[0,1] neg_hi:[0,1]
	v_pk_add_f32 v[98:99], v[16:17], v[18:19]
	v_pk_mul_f32 v[90:91], v[32:33], s[20:21] op_sel_hi:[1,0]
	v_mov_b32_e32 v134, v98
	v_mov_b32_e32 v135, v132
	v_pk_fma_f32 v[136:137], v[28:29], s[24:25], v[90:91] op_sel:[0,0,1] op_sel_hi:[1,0,0] neg_lo:[0,0,1] neg_hi:[0,0,1]
	v_pk_fma_f32 v[138:139], v[28:29], s[24:25], v[90:91] op_sel:[0,0,1] op_sel_hi:[1,0,0]
	s_mov_b32 s25, s20
	v_mov_b32_e32 v98, v133
	s_mov_b32 s21, s24
	v_pk_mul_f32 v[90:91], v[134:135], s[24:25]
	v_pk_mul_f32 v[92:93], v[134:135], s[38:39]
	v_pk_fma_f32 v[140:141], v[132:133], s[20:21], v[90:91] op_sel:[1,0,0] neg_lo:[1,0,0] neg_hi:[1,0,0]
	v_pk_fma_f32 v[142:143], v[98:99], s[20:21], v[90:91]
	v_pk_fma_f32 v[90:91], v[98:99], s[20:21], v[90:91] neg_lo:[0,0,1] neg_hi:[0,0,1]
	v_mov_b32_e32 v141, v143
	v_mov_b32_e32 v143, v91
	v_pk_fma_f32 v[90:91], v[98:99], s[36:37], v[92:93]
	v_pk_fma_f32 v[144:145], v[98:99], s[36:37], v[92:93] neg_lo:[0,0,1] neg_hi:[0,0,1]
	v_pk_add_f32 v[24:25], v[142:143], v[24:25]
	v_mov_b32_e32 v144, v90
	v_pk_add_f32 v[26:27], v[144:145], v[26:27]
	v_pk_fma_f32 v[142:143], v[34:35], s[14:15], v[110:111] op_sel_hi:[1,0,1] neg_lo:[0,0,1] neg_hi:[0,0,1]
	v_pk_fma_f32 v[34:35], v[34:35], s[14:15], v[110:111] op_sel_hi:[1,0,1]
	v_mov_b32_e32 v110, v136
	v_mov_b32_e32 v111, v139
	v_pk_fma_f32 v[144:145], v[42:43], s[30:31], v[100:101] op_sel_hi:[1,0,1] neg_lo:[0,0,1] neg_hi:[0,0,1]
	v_pk_fma_f32 v[100:101], v[42:43], s[30:31], v[100:101] op_sel_hi:[1,0,1]
	v_mov_b32_e32 v146, v144
	v_mov_b32_e32 v147, v101
	v_pk_add_f32 v[110:111], v[110:111], v[0:1]
	s_mov_b32 s28, 0x3e750f2a
	v_pk_add_f32 v[110:111], v[146:147], v[110:111]
	v_mov_b32_e32 v146, v142
	v_mov_b32_e32 v147, v35
	v_pk_add_f32 v[110:111], v[146:147], v[110:111]
	v_pk_mul_f32 v[146:147], v[32:33], s[6:7] op_sel_hi:[1,0]
	s_mov_b32 s29, s16
	v_pk_fma_f32 v[148:149], v[28:29], s[16:17], v[146:147] op_sel:[0,0,1] op_sel_hi:[1,0,0] neg_lo:[0,0,1] neg_hi:[0,0,1]
	v_pk_fma_f32 v[146:147], v[28:29], s[16:17], v[146:147] op_sel:[0,0,1] op_sel_hi:[1,0,0]
	s_mov_b32 s17, s28
	v_pk_mul_f32 v[150:151], v[66:67], s[16:17]
	s_mov_b32 s1, s18
	v_pk_fma_f32 v[152:153], v[36:37], s[28:29], v[150:151] op_sel:[1,0,0] neg_lo:[1,0,0] neg_hi:[1,0,0]
	v_pk_fma_f32 v[154:155], v[50:51], s[28:29], v[150:151]
	s_mov_b32 s19, s0
	v_mov_b32_e32 v153, v155
	v_pk_mul_f32 v[32:33], v[32:33], s[0:1] op_sel_hi:[1,0]
	v_pk_add_f32 v[110:111], v[152:153], v[110:111]
	v_pk_fma_f32 v[152:153], v[28:29], s[18:19], v[32:33] op_sel:[0,0,1] op_sel_hi:[1,0,0] neg_lo:[0,0,1] neg_hi:[0,0,1]
	v_pk_fma_f32 v[32:33], v[28:29], s[18:19], v[32:33] op_sel:[0,0,1] op_sel_hi:[1,0,0]
	v_pk_mul_f32 v[30:31], v[30:31], s[22:23] op_sel:[1,0] op_sel_hi:[0,0]
	v_mov_b32_e32 v28, v152
	v_mov_b32_e32 v29, v33
	v_pk_fma_f32 v[156:157], v[42:43], s[24:25], v[30:31] op_sel_hi:[1,0,1] neg_lo:[0,0,1] neg_hi:[0,0,1]
	v_pk_fma_f32 v[158:159], v[42:43], s[24:25], v[30:31] op_sel_hi:[1,0,1]
	v_mov_b32_e32 v30, v156
	v_mov_b32_e32 v31, v159
	v_pk_add_f32 v[28:29], v[28:29], v[0:1]
	v_mov_b32_e32 v161, v105
	v_pk_add_f32 v[28:29], v[30:31], v[28:29]
	;; [unrolled: 2-line block ×3, first 2 shown]
	v_pk_mul_f32 v[104:105], v[50:51], s[42:43]
	v_pk_mul_f32 v[164:165], v[70:71], s[16:17]
	v_pk_fma_f32 v[162:163], v[66:67], s[30:31], v[104:105]
	v_pk_fma_f32 v[30:31], v[66:67], s[30:31], v[104:105] neg_lo:[0,0,1] neg_hi:[0,0,1]
	v_pk_fma_f32 v[166:167], v[68:69], s[28:29], v[164:165]
	v_mov_b32_e32 v31, v163
	v_pk_add_f32 v[28:29], v[30:31], v[28:29]
	v_pk_fma_f32 v[30:31], v[76:77], s[28:29], v[164:165] op_sel:[1,0,0] neg_lo:[1,0,0] neg_hi:[1,0,0]
	v_mov_b32_e32 v139, v137
	v_mov_b32_e32 v31, v167
	v_pk_mul_f32 v[168:169], v[70:71], s[38:39]
	v_mov_b32_e32 v160, v102
	v_pk_fma_f32 v[102:103], v[66:67], s[30:31], v[104:105] neg_lo:[1,0,0] neg_hi:[1,0,0]
	v_mov_b32_e32 v101, v145
	v_pk_add_f32 v[104:105], v[138:139], v[0:1]
	v_pk_add_f32 v[28:29], v[30:31], v[28:29]
	v_pk_fma_f32 v[30:31], v[76:77], s[36:37], v[168:169] op_sel:[1,0,0] neg_lo:[1,0,0] neg_hi:[1,0,0]
	v_pk_fma_f32 v[170:171], v[68:69], s[36:37], v[168:169]
	v_pk_add_f32 v[100:101], v[100:101], v[104:105]
	v_mov_b32_e32 v35, v143
	v_mov_b32_e32 v31, v171
	s_mov_b32 s42, s11
	s_mov_b32 s43, s10
	v_pk_add_f32 v[34:35], v[34:35], v[100:101]
	v_pk_fma_f32 v[100:101], v[50:51], s[28:29], v[150:151] neg_lo:[0,0,1] neg_hi:[0,0,1]
	v_pk_add_f32 v[30:31], v[30:31], v[110:111]
	v_pk_mul_f32 v[110:111], v[134:135], s[42:43]
	v_mov_b32_e32 v155, v101
	v_mov_b32_e32 v33, v153
	v_pk_fma_f32 v[100:101], v[68:69], s[28:29], v[164:165] neg_lo:[0,0,1] neg_hi:[0,0,1]
	v_pk_fma_f32 v[172:173], v[132:133], s[10:11], v[110:111] op_sel:[1,0,0] neg_lo:[1,0,0] neg_hi:[1,0,0]
	v_pk_fma_f32 v[174:175], v[98:99], s[10:11], v[110:111]
	v_mov_b32_e32 v159, v157
	v_pk_add_f32 v[32:33], v[32:33], v[0:1]
	v_mov_b32_e32 v167, v101
	v_pk_fma_f32 v[100:101], v[68:69], s[36:37], v[168:169] neg_lo:[0,0,1] neg_hi:[0,0,1]
	v_mov_b32_e32 v173, v175
	v_pk_add_f32 v[34:35], v[154:155], v[34:35]
	v_pk_add_f32 v[32:33], v[158:159], v[32:33]
	v_mov_b32_e32 v171, v101
	v_pk_add_f32 v[28:29], v[172:173], v[28:29]
	v_pk_mul_f32 v[172:173], v[134:135], s[18:19]
	v_mov_b32_e32 v102, v162
	v_pk_add_f32 v[32:33], v[160:161], v[32:33]
	v_pk_add_f32 v[100:101], v[170:171], v[34:35]
	v_pk_fma_f32 v[34:35], v[98:99], s[10:11], v[110:111] neg_lo:[0,0,1] neg_hi:[0,0,1]
	v_pk_fma_f32 v[176:177], v[132:133], s[0:1], v[172:173] op_sel:[1,0,0] neg_lo:[1,0,0] neg_hi:[1,0,0]
	v_pk_fma_f32 v[178:179], v[98:99], s[0:1], v[172:173]
	v_pk_add_f32 v[32:33], v[102:103], v[32:33]
	v_mov_b32_e32 v175, v35
	v_pk_fma_f32 v[34:35], v[98:99], s[0:1], v[172:173] neg_lo:[0,0,1] neg_hi:[0,0,1]
	v_mov_b32_e32 v177, v179
	v_pk_add_f32 v[32:33], v[166:167], v[32:33]
	v_mov_b32_e32 v179, v35
	v_pk_add_f32 v[34:35], v[174:175], v[32:33]
	v_pk_add_f32 v[32:33], v[178:179], v[100:101]
	v_mov_b32_e32 v100, v148
	v_mov_b32_e32 v101, v147
	v_mov_b32_e32 v102, v106
	v_mov_b32_e32 v103, v109
	v_pk_add_f32 v[100:101], v[100:101], v[0:1]
	v_mov_b32_e32 v147, v149
	v_pk_add_f32 v[100:101], v[102:103], v[100:101]
	v_mov_b32_e32 v109, v107
	v_pk_add_f32 v[102:103], v[146:147], v[0:1]
	v_mov_b32_e32 v105, v65
	v_pk_add_f32 v[102:103], v[108:109], v[102:103]
	v_mov_b32_e32 v65, v39
	v_mov_b32_e32 v104, v38
	v_pk_add_f32 v[38:39], v[64:65], v[102:103]
	v_pk_mul_f32 v[64:65], v[66:67], s[42:43]
	v_pk_add_f32 v[100:101], v[104:105], v[100:101]
	v_pk_fma_f32 v[36:37], v[36:37], s[10:11], v[64:65] op_sel:[1,0,0] neg_lo:[1,0,0] neg_hi:[1,0,0]
	v_pk_fma_f32 v[102:103], v[50:51], s[10:11], v[64:65]
	v_pk_fma_f32 v[64:65], v[50:51], s[10:11], v[64:65] neg_lo:[0,0,1] neg_hi:[0,0,1]
	v_mov_b32_e32 v37, v103
	v_mov_b32_e32 v64, v102
	v_pk_add_f32 v[38:39], v[64:65], v[38:39]
	v_pk_mul_f32 v[64:65], v[70:71], s[18:19]
	v_pk_add_f32 v[36:37], v[36:37], v[100:101]
	v_pk_fma_f32 v[76:77], v[76:77], s[0:1], v[64:65] op_sel:[1,0,0] neg_lo:[1,0,0] neg_hi:[1,0,0]
	v_pk_fma_f32 v[100:101], v[68:69], s[0:1], v[64:65]
	v_pk_fma_f32 v[64:65], v[68:69], s[0:1], v[64:65] neg_lo:[0,0,1] neg_hi:[0,0,1]
	v_mov_b32_e32 v77, v101
	v_mov_b32_e32 v101, v65
	v_pk_mul_f32 v[64:65], v[134:135], s[34:35]
	v_pk_add_f32 v[36:37], v[76:77], v[36:37]
	v_pk_add_f32 v[38:39], v[100:101], v[38:39]
	v_pk_fma_f32 v[76:77], v[132:133], s[26:27], v[64:65] op_sel:[1,0,0] neg_lo:[1,0,0] neg_hi:[1,0,0]
	v_pk_fma_f32 v[100:101], v[98:99], s[26:27], v[64:65]
	v_pk_fma_f32 v[64:65], v[98:99], s[26:27], v[64:65] neg_lo:[0,0,1] neg_hi:[0,0,1]
	v_mov_b32_e32 v77, v101
	v_mov_b32_e32 v101, v65
	v_pk_add_f32 v[36:37], v[76:77], v[36:37]
	v_pk_add_f32 v[38:39], v[100:101], v[38:39]
	v_pk_fma_f32 v[76:77], v[42:43], s[14:15], v[112:113] op_sel_hi:[1,0,1]
	v_pk_fma_f32 v[100:101], v[42:43], s[14:15], v[112:113] op_sel_hi:[1,0,1] neg_lo:[0,0,1] neg_hi:[0,0,1]
	v_mov_b32_e32 v42, v86
	v_mov_b32_e32 v43, v89
	v_pk_add_f32 v[42:43], v[42:43], v[0:1]
	v_mov_b32_e32 v64, v76
	v_mov_b32_e32 v65, v101
	v_pk_add_f32 v[42:43], v[64:65], v[42:43]
	v_mov_b32_e32 v64, v78
	v_mov_b32_e32 v65, v81
	v_pk_mul_f32 v[104:105], v[66:67], s[18:19]
	v_pk_add_f32 v[42:43], v[64:65], v[42:43]
	v_pk_fma_f32 v[102:103], v[50:51], s[0:1], v[104:105]
	v_pk_fma_f32 v[64:65], v[50:51], s[0:1], v[104:105] neg_lo:[0,0,1] neg_hi:[0,0,1]
	v_pk_mul_f32 v[108:109], v[70:71], s[24:25]
	v_mov_b32_e32 v64, v102
	v_pk_add_f32 v[42:43], v[64:65], v[42:43]
	v_pk_fma_f32 v[106:107], v[68:69], s[20:21], v[108:109]
	v_pk_fma_f32 v[64:65], v[68:69], s[20:21], v[108:109] neg_lo:[0,0,1] neg_hi:[0,0,1]
	s_mov_b32 s17, s6
	v_mov_b32_e32 v64, v106
	s_mov_b32 s7, s16
	v_pk_mul_f32 v[112:113], v[134:135], s[16:17]
	v_pk_add_f32 v[42:43], v[64:65], v[42:43]
	v_pk_fma_f32 v[110:111], v[98:99], s[6:7], v[112:113]
	v_pk_fma_f32 v[64:65], v[98:99], s[6:7], v[112:113] neg_lo:[0,0,1] neg_hi:[0,0,1]
	v_mov_b32_e32 v96, v94
	v_mov_b32_e32 v64, v110
	v_pk_add_f32 v[64:65], v[64:65], v[42:43]
	v_mov_b32_e32 v83, v85
	v_pk_add_f32 v[42:43], v[96:97], v[0:1]
	;; [unrolled: 2-line block ×3, first 2 shown]
	v_pk_fma_f32 v[66:67], v[66:67], s[38:39], v[124:125] neg_lo:[0,0,1] neg_hi:[0,0,1]
	v_pk_add_f32 v[42:43], v[122:123], v[42:43]
	v_mov_b32_e32 v67, v127
	v_pk_add_f32 v[42:43], v[66:67], v[42:43]
	v_pk_fma_f32 v[66:67], v[70:71], s[40:41], v[128:129] neg_lo:[0,0,1] neg_hi:[0,0,1]
	v_pk_add_f32 v[30:31], v[176:177], v[30:31]
	v_mov_b32_e32 v67, v131
	v_pk_add_f32 v[42:43], v[66:67], v[42:43]
	v_mul_lo_u16_e32 v46, 13, v117
	v_pk_add_f32 v[42:43], v[140:141], v[42:43]
	s_barrier
	s_and_saveexec_b64 s[10:11], vcc
	s_cbranch_execz .LBB0_7
; %bb.6:
	v_pk_add_f32 v[2:3], v[2:3], v[0:1]
	v_mov_b32_e32 v89, v87
	v_pk_add_f32 v[2:3], v[8:9], v[2:3]
	v_pk_mul_f32 v[66:67], v[50:51], s[0:1]
	v_pk_add_f32 v[2:3], v[10:11], v[2:3]
	v_mov_b32_e32 v101, v77
	v_pk_add_f32 v[2:3], v[20:21], v[2:3]
	v_mov_b32_e32 v81, v79
	v_pk_add_f32 v[2:3], v[22:23], v[2:3]
	v_pk_mul_f32 v[70:71], v[68:69], s[20:21]
	v_pk_add_f32 v[2:3], v[16:17], v[2:3]
	v_pk_mul_f32 v[82:83], v[98:99], s[6:7]
	v_pk_add_f32 v[2:3], v[18:19], v[2:3]
	v_mov_b32_e32 v49, v47
	v_pk_add_f32 v[2:3], v[12:13], v[2:3]
	v_pk_mul_f32 v[50:51], v[50:51], s[22:23]
	v_pk_add_f32 v[2:3], v[14:15], v[2:3]
	v_add_lshl_u32 v52, v118, v46, 3
	v_pk_add_f32 v[2:3], v[4:5], v[2:3]
	v_pk_add_f32 v[4:5], v[88:89], v[0:1]
	;; [unrolled: 1-line block ×4, first 2 shown]
	v_pk_add_f32 v[6:7], v[104:105], v[66:67] neg_lo:[0,1] neg_hi:[0,1]
	v_pk_add_f32 v[4:5], v[80:81], v[4:5]
	v_mov_b32_e32 v7, v103
	v_pk_add_f32 v[4:5], v[6:7], v[4:5]
	v_pk_add_f32 v[6:7], v[108:109], v[70:71] neg_lo:[0,1] neg_hi:[0,1]
	v_pk_add_f32 v[2:3], v[40:41], v[2:3]
	v_mov_b32_e32 v7, v107
	v_pk_add_f32 v[4:5], v[6:7], v[4:5]
	;; [unrolled: 4-line block ×3, first 2 shown]
	v_mov_b32_e32 v55, v53
	ds_write2_b64 v52, v[2:3], v[4:5] offset1:1
	v_pk_add_f32 v[0:1], v[54:55], v[0:1]
	v_mov_b32_e32 v59, v57
	v_pk_add_f32 v[2:3], v[62:63], v[50:51] neg_lo:[0,1] neg_hi:[0,1]
	v_pk_mul_f32 v[68:69], v[68:69], s[26:27]
	v_pk_add_f32 v[0:1], v[58:59], v[0:1]
	v_mov_b32_e32 v3, v61
	v_pk_add_f32 v[0:1], v[2:3], v[0:1]
	v_pk_add_f32 v[2:3], v[74:75], v[68:69] neg_lo:[0,1] neg_hi:[0,1]
	v_pk_mul_f32 v[84:85], v[98:99], s[36:37]
	v_mov_b32_e32 v3, v73
	v_pk_add_f32 v[0:1], v[2:3], v[0:1]
	v_pk_add_f32 v[2:3], v[92:93], v[84:85] neg_lo:[0,1] neg_hi:[0,1]
	s_nop 0
	v_mov_b32_e32 v3, v91
	v_pk_add_f32 v[0:1], v[2:3], v[0:1]
	ds_write2_b64 v52, v[0:1], v[42:43] offset0:2 offset1:3
	ds_write2_b64 v52, v[28:29], v[30:31] offset0:4 offset1:5
	ds_write2_b64 v52, v[36:37], v[38:39] offset0:6 offset1:7
	ds_write2_b64 v52, v[32:33], v[34:35] offset0:8 offset1:9
	ds_write2_b64 v52, v[24:25], v[26:27] offset0:10 offset1:11
	ds_write_b64 v52, v[64:65] offset:96
.LBB0_7:
	s_or_b64 exec, exec, s[10:11]
	v_lshlrev_b32_e32 v0, 4, v117
	s_load_dwordx4 s[0:3], s[2:3], 0x0
	s_waitcnt lgkmcnt(0)
	s_barrier
	global_load_dwordx4 v[0:3], v0, s[4:5]
	v_add_lshl_u32 v101, v118, v117, 3
	ds_read2_b64 v[6:9], v101 offset1:13
	ds_read_b64 v[4:5], v101 offset:208
	s_mov_b32 s4, 0x3f5db3d7
	v_lshl_add_u32 v100, v117, 3, v119
	s_waitcnt vmcnt(0) lgkmcnt(1)
	v_pk_mul_f32 v[10:11], v[8:9], v[0:1] op_sel:[0,1]
	v_mov_b32_e32 v12, v3
	v_pk_fma_f32 v[14:15], v[8:9], v[0:1], v[10:11] op_sel:[0,0,1] op_sel_hi:[1,1,0] neg_lo:[0,0,1] neg_hi:[0,0,1]
	v_pk_fma_f32 v[8:9], v[8:9], v[0:1], v[10:11] op_sel:[0,0,1] op_sel_hi:[1,0,0]
	s_waitcnt lgkmcnt(0)
	v_pk_mul_f32 v[10:11], v[4:5], v[12:13] op_sel_hi:[1,0]
	v_mov_b32_e32 v15, v9
	v_pk_fma_f32 v[8:9], v[4:5], v[2:3], v[10:11] op_sel:[0,0,1] op_sel_hi:[1,1,0] neg_lo:[0,0,1] neg_hi:[0,0,1]
	v_pk_fma_f32 v[4:5], v[4:5], v[2:3], v[10:11] op_sel:[0,0,1] op_sel_hi:[1,0,0]
	s_nop 0
	v_mov_b32_e32 v9, v5
	v_pk_add_f32 v[4:5], v[6:7], v[14:15]
	v_pk_add_f32 v[10:11], v[14:15], v[8:9]
	v_pk_add_f32 v[12:13], v[14:15], v[8:9] neg_lo:[0,1] neg_hi:[0,1]
	v_pk_add_f32 v[4:5], v[4:5], v[8:9]
	v_pk_fma_f32 v[6:7], -0.5, v[10:11], v[6:7] op_sel_hi:[0,1,1]
	v_pk_mul_f32 v[8:9], v[12:13], s[4:5] op_sel_hi:[1,0]
	s_nop 0
	v_pk_add_f32 v[10:11], v[6:7], v[8:9] op_sel:[0,1] op_sel_hi:[1,0] neg_lo:[0,1] neg_hi:[0,1]
	v_pk_add_f32 v[6:7], v[6:7], v[8:9] op_sel:[0,1] op_sel_hi:[1,0]
	v_mov_b32_e32 v40, v10
	v_mov_b32_e32 v41, v7
	;; [unrolled: 1-line block ×3, first 2 shown]
	ds_write2_b64 v100, v[4:5], v[6:7] offset1:13
	ds_write_b64 v100, v[40:41] offset:208
	s_waitcnt lgkmcnt(0)
	s_barrier
	s_and_saveexec_b64 s[4:5], vcc
	s_cbranch_execz .LBB0_9
; %bb.8:
	global_load_dwordx2 v[56:57], v115, s[8:9] offset:312
	s_add_u32 s6, s8, 0x138
	s_addc_u32 s7, s9, 0
	global_load_dwordx2 v[58:59], v115, s[6:7] offset:24
	global_load_dwordx2 v[60:61], v115, s[6:7] offset:48
	;; [unrolled: 1-line block ×12, first 2 shown]
	ds_read2_b64 v[8:11], v100 offset1:3
	ds_read2_b64 v[12:15], v100 offset0:6 offset1:9
	ds_read2_b64 v[16:19], v100 offset0:12 offset1:15
	;; [unrolled: 1-line block ×5, first 2 shown]
	ds_read_b64 v[84:85], v100 offset:288
	s_waitcnt vmcnt(9) lgkmcnt(5)
	v_mul_f32_e32 v88, v15, v63
	s_waitcnt vmcnt(8) lgkmcnt(4)
	v_mul_f32_e32 v89, v17, v67
	s_waitcnt vmcnt(7)
	v_mul_f32_e32 v90, v19, v69
	s_waitcnt vmcnt(6) lgkmcnt(3)
	v_mul_f32_e32 v91, v21, v71
	s_waitcnt vmcnt(5)
	v_mul_f32_e32 v92, v23, v73
	s_waitcnt vmcnt(4) lgkmcnt(2)
	v_mul_f32_e32 v93, v49, v75
	v_mul_f32_e32 v47, v9, v57
	;; [unrolled: 1-line block ×3, first 2 shown]
	v_fma_f32 v86, v8, v56, -v47
	v_fmac_f32_e32 v87, v9, v56
	v_mul_f32_e32 v8, v11, v59
	v_mul_f32_e32 v9, v10, v59
	;; [unrolled: 1-line block ×10, first 2 shown]
	s_waitcnt vmcnt(3)
	v_mul_f32_e32 v94, v51, v77
	v_mul_f32_e32 v73, v50, v77
	s_waitcnt vmcnt(2) lgkmcnt(1)
	v_mul_f32_e32 v95, v53, v79
	v_mul_f32_e32 v75, v52, v79
	s_waitcnt vmcnt(1)
	v_mul_f32_e32 v96, v55, v81
	v_mul_f32_e32 v77, v54, v81
	s_waitcnt vmcnt(0) lgkmcnt(0)
	v_mul_f32_e32 v81, v85, v83
	v_mul_f32_e32 v79, v84, v83
	v_fma_f32 v8, v10, v58, -v8
	v_fmac_f32_e32 v9, v11, v58
	v_fma_f32 v56, v12, v60, -v47
	v_fmac_f32_e32 v57, v13, v60
	;; [unrolled: 2-line block ×12, first 2 shown]
	ds_write2_b64 v100, v[86:87], v[8:9] offset1:3
	ds_write2_b64 v100, v[56:57], v[58:59] offset0:6 offset1:9
	ds_write2_b64 v100, v[60:61], v[62:63] offset0:12 offset1:15
	;; [unrolled: 1-line block ×5, first 2 shown]
	ds_write_b64 v100, v[78:79] offset:288
.LBB0_9:
	s_or_b64 exec, exec, s[4:5]
	s_waitcnt lgkmcnt(0)
	s_barrier
	s_and_saveexec_b64 s[4:5], vcc
	s_cbranch_execz .LBB0_11
; %bb.10:
	ds_read2_b64 v[4:7], v100 offset1:3
	ds_read2_b64 v[40:43], v100 offset0:6 offset1:9
	ds_read2_b64 v[28:31], v100 offset0:12 offset1:15
	;; [unrolled: 1-line block ×5, first 2 shown]
	ds_read_b64 v[64:65], v100 offset:288
.LBB0_11:
	s_or_b64 exec, exec, s[4:5]
	v_mov_b32_e32 v10, v0
	v_mov_b32_e32 v11, v0
	v_mov_b32_e32 v0, v1
	v_mov_b32_e32 v8, v2
	v_mov_b32_e32 v9, v2
	v_mov_b32_e32 v2, v3
	s_waitcnt lgkmcnt(0)
	s_barrier
	s_and_saveexec_b64 s[4:5], vcc
	s_cbranch_execz .LBB0_13
; %bb.12:
	v_pk_add_f32 v[12:13], v[6:7], v[4:5]
	v_pk_add_f32 v[82:83], v[6:7], v[64:65] neg_lo:[0,1] neg_hi:[0,1]
	v_pk_add_f32 v[12:13], v[40:41], v[12:13]
	s_mov_b32 s6, 0x3f62ad3f
	v_pk_add_f32 v[12:13], v[42:43], v[12:13]
	s_mov_b32 s10, 0xbeedf032
	v_pk_add_f32 v[12:13], v[28:29], v[12:13]
	v_lshl_add_u32 v119, v46, 3, v119
	v_pk_add_f32 v[12:13], v[30:31], v[12:13]
	v_pk_add_f32 v[76:77], v[64:65], v[6:7]
	;; [unrolled: 1-line block ×3, first 2 shown]
	s_mov_b32 s7, 0x3eedf032
	v_pk_add_f32 v[12:13], v[38:39], v[12:13]
	v_pk_add_f32 v[74:75], v[40:41], v[26:27] neg_lo:[0,1] neg_hi:[0,1]
	v_pk_add_f32 v[12:13], v[32:33], v[12:13]
	s_mov_b32 s24, 0xbf52af12
	v_pk_add_f32 v[12:13], v[34:35], v[12:13]
	v_pk_add_f32 v[66:67], v[26:27], v[40:41]
	;; [unrolled: 1-line block ×3, first 2 shown]
	s_mov_b32 s20, 0x3f116cb1
	v_pk_add_f32 v[12:13], v[26:27], v[12:13]
	v_pk_mul_f32 v[16:17], v[74:75], s[24:25] op_sel_hi:[1,0]
	v_pk_add_f32 v[46:47], v[64:65], v[12:13]
	v_pk_mul_f32 v[12:13], v[82:83], s[10:11] op_sel_hi:[1,0]
	v_pk_add_f32 v[64:65], v[42:43], v[24:25] neg_lo:[0,1] neg_hi:[0,1]
	v_pk_fma_f32 v[6:7], v[76:77], s[6:7], v[12:13] op_sel:[0,0,1] op_sel_hi:[1,0,0]
	v_pk_fma_f32 v[12:13], v[76:77], s[6:7], v[12:13] op_sel:[0,0,1] op_sel_hi:[1,0,0] neg_lo:[0,0,1] neg_hi:[0,0,1]
	v_mov_b32_e32 v14, v6
	v_mov_b32_e32 v15, v13
	v_pk_add_f32 v[18:19], v[4:5], v[14:15]
	v_pk_fma_f32 v[14:15], v[66:67], s[20:21], v[16:17] op_sel:[0,0,1] op_sel_hi:[1,0,0]
	v_pk_fma_f32 v[16:17], v[66:67], s[20:21], v[16:17] op_sel:[0,0,1] op_sel_hi:[1,0,0] neg_lo:[0,0,1] neg_hi:[0,0,1]
	v_mov_b32_e32 v20, v14
	v_mov_b32_e32 v21, v17
	s_mov_b32 s16, 0x3df6dbef
	s_mov_b32 s34, 0xbf7e222b
	v_pk_add_f32 v[56:57], v[24:25], v[42:43]
	v_pk_add_f32 v[22:23], v[20:21], v[18:19]
	s_mov_b32 s17, 0x3f7e222b
	v_pk_mul_f32 v[20:21], v[64:65], s[34:35] op_sel_hi:[1,0]
	s_mov_b32 s10, 0xbeb58ec6
	v_pk_fma_f32 v[18:19], v[56:57], s[16:17], v[20:21] op_sel:[0,0,1] op_sel_hi:[1,0,0]
	v_pk_fma_f32 v[20:21], v[56:57], s[16:17], v[20:21] op_sel:[0,0,1] op_sel_hi:[1,0,0] neg_lo:[0,0,1] neg_hi:[0,0,1]
	v_pk_add_f32 v[68:69], v[28:29], v[34:35]
	v_pk_add_f32 v[48:49], v[28:29], v[34:35] neg_lo:[0,1] neg_hi:[0,1]
	v_mov_b32_e32 v24, v18
	v_mov_b32_e32 v25, v21
	s_mov_b32 s11, 0xbf6f5d39
	v_pk_add_f32 v[28:29], v[24:25], v[22:23]
	v_mov_b32_e32 v22, v68
	v_mov_b32_e32 v68, v49
	s_mov_b32 s26, s11
	s_mov_b32 s27, s10
	v_mov_b32_e32 v23, v48
	v_pk_mul_f32 v[26:27], v[68:69], s[26:27]
	v_pk_add_f32 v[62:63], v[30:31], v[32:33]
	v_pk_add_f32 v[50:51], v[30:31], v[32:33] neg_lo:[0,1] neg_hi:[0,1]
	v_pk_fma_f32 v[24:25], v[22:23], s[10:11], v[26:27]
	v_pk_fma_f32 v[30:31], v[22:23], s[10:11], v[26:27] neg_lo:[1,0,0] neg_hi:[1,0,0]
	s_mov_b32 s14, 0xbf3f9e67
	v_mov_b32_e32 v30, v24
	s_mov_b32 s15, 0xbf29c268
	v_pk_add_f32 v[34:35], v[30:31], v[28:29]
	v_mov_b32_e32 v28, v62
	v_mov_b32_e32 v62, v51
	s_mov_b32 s30, s15
	s_mov_b32 s31, s14
	v_mov_b32_e32 v29, v50
	v_pk_mul_f32 v[32:33], v[62:63], s[30:31]
	v_pk_add_f32 v[54:55], v[36:37], v[38:39]
	v_pk_add_f32 v[52:53], v[36:37], v[38:39] neg_lo:[0,1] neg_hi:[0,1]
	v_pk_fma_f32 v[30:31], v[28:29], s[14:15], v[32:33]
	v_pk_fma_f32 v[36:37], v[28:29], s[14:15], v[32:33] neg_lo:[1,0,0] neg_hi:[1,0,0]
	s_mov_b32 s18, 0xbf788fa5
	v_pk_mul_f32 v[60:61], v[82:83], s[24:25] op_sel_hi:[1,0]
	v_mov_b32_e32 v36, v30
	s_mov_b32 s19, 0xbe750f2a
	v_pk_fma_f32 v[58:59], v[76:77], s[20:21], v[60:61] op_sel:[0,0,1] op_sel_hi:[1,0,0]
	v_pk_fma_f32 v[60:61], v[76:77], s[20:21], v[60:61] op_sel:[0,0,1] op_sel_hi:[1,0,0] neg_lo:[0,0,1] neg_hi:[0,0,1]
	s_mov_b32 s42, s11
	v_pk_add_f32 v[40:41], v[36:37], v[34:35]
	v_mov_b32_e32 v34, v54
	v_mov_b32_e32 v54, v53
	s_mov_b32 s22, s19
	s_mov_b32 s23, s18
	v_mov_b32_e32 v70, v58
	v_mov_b32_e32 v71, v61
	v_pk_mul_f32 v[72:73], v[74:75], s[42:43] op_sel_hi:[1,0]
	v_mov_b32_e32 v35, v52
	v_pk_mul_f32 v[38:39], v[54:55], s[22:23]
	v_pk_add_f32 v[78:79], v[4:5], v[70:71]
	v_pk_fma_f32 v[70:71], v[66:67], s[10:11], v[72:73] op_sel:[0,0,1] op_sel_hi:[1,0,0]
	v_pk_fma_f32 v[72:73], v[66:67], s[10:11], v[72:73] op_sel:[0,0,1] op_sel_hi:[1,0,0] neg_lo:[0,0,1] neg_hi:[0,0,1]
	v_pk_fma_f32 v[36:37], v[34:35], s[18:19], v[38:39]
	v_pk_fma_f32 v[42:43], v[34:35], s[18:19], v[38:39] neg_lo:[1,0,0] neg_hi:[1,0,0]
	s_mov_b32 s23, 0x3f29c268
	v_mov_b32_e32 v80, v70
	v_mov_b32_e32 v81, v73
	s_mov_b32 s38, s19
	v_mov_b32_e32 v42, v36
	s_mov_b32 s28, s23
	s_mov_b32 s29, s14
	v_pk_add_f32 v[90:91], v[80:81], v[78:79]
	v_pk_mul_f32 v[80:81], v[64:65], s[38:39] op_sel_hi:[1,0]
	v_pk_mul_f32 v[98:99], v[82:83], s[34:35] op_sel_hi:[1,0]
	v_pk_add_f32 v[40:41], v[42:43], v[40:41]
	s_mov_b32 s22, s14
	v_pk_mul_f32 v[42:43], v[68:69], s[28:29]
	s_mov_b32 s28, s17
	s_mov_b32 s29, s16
	v_pk_fma_f32 v[78:79], v[56:57], s[18:19], v[80:81] op_sel:[0,0,1] op_sel_hi:[1,0,0]
	v_pk_fma_f32 v[80:81], v[56:57], s[18:19], v[80:81] op_sel:[0,0,1] op_sel_hi:[1,0,0] neg_lo:[0,0,1] neg_hi:[0,0,1]
	v_pk_fma_f32 v[96:97], v[76:77], s[16:17], v[98:99] op_sel:[0,0,1] op_sel_hi:[1,0,0]
	v_pk_fma_f32 v[98:99], v[76:77], s[16:17], v[98:99] op_sel:[0,0,1] op_sel_hi:[1,0,0] neg_lo:[0,0,1] neg_hi:[0,0,1]
	v_pk_mul_f32 v[112:113], v[74:75], s[38:39] op_sel_hi:[1,0]
	ds_write2_b64 v119, v[46:47], v[40:41] offset1:1
	v_pk_fma_f32 v[40:41], v[22:23], s[22:23], v[42:43]
	v_pk_fma_f32 v[84:85], v[22:23], s[22:23], v[42:43] neg_lo:[1,0,0] neg_hi:[1,0,0]
	v_pk_mul_f32 v[48:49], v[62:63], s[28:29]
	s_mov_b32 s40, s7
	s_mov_b32 s41, s6
	v_mov_b32_e32 v92, v78
	v_mov_b32_e32 v93, v81
	;; [unrolled: 1-line block ×4, first 2 shown]
	v_pk_fma_f32 v[120:121], v[66:67], s[18:19], v[112:113] op_sel:[0,0,1] op_sel_hi:[1,0,0]
	v_pk_fma_f32 v[112:113], v[66:67], s[18:19], v[112:113] op_sel:[0,0,1] op_sel_hi:[1,0,0] neg_lo:[0,0,1] neg_hi:[0,0,1]
	v_mov_b32_e32 v84, v40
	v_pk_fma_f32 v[46:47], v[28:29], s[16:17], v[48:49]
	v_pk_fma_f32 v[86:87], v[28:29], s[16:17], v[48:49] neg_lo:[1,0,0] neg_hi:[1,0,0]
	v_pk_mul_f32 v[52:53], v[54:55], s[40:41]
	v_pk_add_f32 v[90:91], v[92:93], v[90:91]
	v_pk_mul_f32 v[94:95], v[54:55], s[30:31]
	v_pk_add_f32 v[110:111], v[4:5], v[110:111]
	v_mov_b32_e32 v122, v120
	v_mov_b32_e32 v123, v113
	s_mov_b32 s30, 0x3f6f5d39
	v_mov_b32_e32 v86, v46
	v_pk_fma_f32 v[50:51], v[34:35], s[6:7], v[52:53]
	v_pk_fma_f32 v[88:89], v[34:35], s[6:7], v[52:53] neg_lo:[1,0,0] neg_hi:[1,0,0]
	v_pk_add_f32 v[84:85], v[84:85], v[90:91]
	v_pk_add_f32 v[110:111], v[122:123], v[110:111]
	v_pk_mul_f32 v[122:123], v[64:65], s[30:31] op_sel_hi:[1,0]
	v_mov_b32_e32 v88, v50
	v_pk_add_f32 v[84:85], v[86:87], v[84:85]
	v_pk_mul_f32 v[86:87], v[68:69], s[40:41]
	s_mov_b32 s25, s20
	v_pk_fma_f32 v[124:125], v[56:57], s[10:11], v[122:123] op_sel:[0,0,1] op_sel_hi:[1,0,0]
	v_pk_fma_f32 v[122:123], v[56:57], s[10:11], v[122:123] op_sel:[0,0,1] op_sel_hi:[1,0,0] neg_lo:[0,0,1] neg_hi:[0,0,1]
	v_pk_add_f32 v[102:103], v[88:89], v[84:85]
	v_pk_fma_f32 v[84:85], v[22:23], s[6:7], v[86:87]
	v_pk_fma_f32 v[104:105], v[22:23], s[6:7], v[86:87] neg_lo:[1,0,0] neg_hi:[1,0,0]
	s_mov_b32 s21, s24
	v_pk_mul_f32 v[90:91], v[62:63], s[24:25]
	v_mov_b32_e32 v126, v124
	v_mov_b32_e32 v127, v123
	;; [unrolled: 1-line block ×3, first 2 shown]
	v_pk_fma_f32 v[88:89], v[28:29], s[20:21], v[90:91]
	v_pk_fma_f32 v[106:107], v[28:29], s[20:21], v[90:91] neg_lo:[1,0,0] neg_hi:[1,0,0]
	v_pk_add_f32 v[110:111], v[126:127], v[110:111]
	v_pk_mul_f32 v[134:135], v[82:83], s[42:43] op_sel_hi:[1,0]
	s_mov_b32 s42, s23
	v_mov_b32_e32 v106, v88
	v_pk_fma_f32 v[92:93], v[34:35], s[14:15], v[94:95]
	v_pk_fma_f32 v[108:109], v[34:35], s[14:15], v[94:95] neg_lo:[1,0,0] neg_hi:[1,0,0]
	v_pk_add_f32 v[104:105], v[104:105], v[110:111]
	v_pk_fma_f32 v[136:137], v[76:77], s[10:11], v[134:135] op_sel:[0,0,1] op_sel_hi:[1,0,0]
	v_pk_fma_f32 v[134:135], v[76:77], s[10:11], v[134:135] op_sel:[0,0,1] op_sel_hi:[1,0,0] neg_lo:[0,0,1] neg_hi:[0,0,1]
	v_pk_mul_f32 v[140:141], v[74:75], s[42:43] op_sel_hi:[1,0]
	v_mov_b32_e32 v108, v92
	v_pk_add_f32 v[104:105], v[106:107], v[104:105]
	v_mov_b32_e32 v138, v136
	v_mov_b32_e32 v139, v135
	v_pk_fma_f32 v[142:143], v[66:67], s[14:15], v[140:141] op_sel:[0,0,1] op_sel_hi:[1,0,0]
	v_pk_fma_f32 v[140:141], v[66:67], s[14:15], v[140:141] op_sel:[0,0,1] op_sel_hi:[1,0,0] neg_lo:[0,0,1] neg_hi:[0,0,1]
	v_pk_add_f32 v[104:105], v[108:109], v[104:105]
	s_mov_b32 s35, s16
	v_pk_add_f32 v[138:139], v[4:5], v[138:139]
	v_mov_b32_e32 v144, v142
	v_mov_b32_e32 v145, v141
	s_mov_b32 s42, s7
	ds_write2_b64 v119, v[102:103], v[104:105] offset0:2 offset1:3
	v_pk_mul_f32 v[102:103], v[68:69], s[34:35]
	s_mov_b32 s35, 0x3e750f2a
	v_pk_add_f32 v[138:139], v[144:145], v[138:139]
	v_pk_mul_f32 v[144:145], v[64:65], s[42:43] op_sel_hi:[1,0]
	s_mov_b32 s30, s16
	s_mov_b32 s31, s34
	;; [unrolled: 1-line block ×4, first 2 shown]
	v_pk_fma_f32 v[146:147], v[56:57], s[6:7], v[144:145] op_sel:[0,0,1] op_sel_hi:[1,0,0]
	v_pk_fma_f32 v[144:145], v[56:57], s[6:7], v[144:145] op_sel:[0,0,1] op_sel_hi:[1,0,0] neg_lo:[0,0,1] neg_hi:[0,0,1]
	v_pk_fma_f32 v[104:105], v[22:23], s[30:31], v[102:103]
	v_pk_fma_f32 v[106:107], v[22:23], s[30:31], v[102:103] neg_lo:[1,0,0] neg_hi:[1,0,0]
	s_mov_b32 s34, s18
	v_pk_mul_f32 v[108:109], v[62:63], s[44:45]
	v_mov_b32_e32 v148, v146
	v_mov_b32_e32 v149, v145
	;; [unrolled: 1-line block ×3, first 2 shown]
	v_pk_fma_f32 v[110:111], v[28:29], s[34:35], v[108:109]
	v_pk_fma_f32 v[126:127], v[28:29], s[34:35], v[108:109] neg_lo:[1,0,0] neg_hi:[1,0,0]
	v_pk_add_f32 v[138:139], v[148:149], v[138:139]
	v_mov_b32_e32 v126, v110
	v_pk_add_f32 v[106:107], v[106:107], v[138:139]
	v_pk_mul_f32 v[148:149], v[62:63], s[40:41]
	s_mov_b32 s40, s15
	v_pk_add_f32 v[106:107], v[126:127], v[106:107]
	v_pk_mul_f32 v[126:127], v[68:69], s[44:45]
	v_pk_mul_f32 v[160:161], v[82:83], s[40:41] op_sel_hi:[1,0]
	s_mov_b32 s44, s17
	s_mov_b32 s37, 0x3f52af12
	v_pk_fma_f32 v[162:163], v[76:77], s[14:15], v[160:161] op_sel:[0,0,1] op_sel_hi:[1,0,0]
	v_pk_fma_f32 v[160:161], v[76:77], s[14:15], v[160:161] op_sel:[0,0,1] op_sel_hi:[1,0,0] neg_lo:[0,0,1] neg_hi:[0,0,1]
	v_pk_mul_f32 v[166:167], v[74:75], s[44:45] op_sel_hi:[1,0]
	s_mov_b32 s46, s37
	s_mov_b32 s47, s20
	v_mov_b32_e32 v164, v162
	v_mov_b32_e32 v165, v161
	v_pk_fma_f32 v[168:169], v[66:67], s[16:17], v[166:167] op_sel:[0,0,1] op_sel_hi:[1,0,0]
	v_pk_fma_f32 v[166:167], v[66:67], s[16:17], v[166:167] op_sel:[0,0,1] op_sel_hi:[1,0,0] neg_lo:[0,0,1] neg_hi:[0,0,1]
	s_mov_b32 s36, s20
	v_pk_mul_f32 v[128:129], v[54:55], s[46:47]
	v_pk_add_f32 v[164:165], v[4:5], v[164:165]
	v_mov_b32_e32 v170, v168
	v_mov_b32_e32 v171, v167
	v_pk_fma_f32 v[130:131], v[34:35], s[36:37], v[128:129]
	v_pk_fma_f32 v[132:133], v[34:35], s[36:37], v[128:129] neg_lo:[1,0,0] neg_hi:[1,0,0]
	v_pk_add_f32 v[164:165], v[170:171], v[164:165]
	v_pk_mul_f32 v[170:171], v[64:65], s[24:25] op_sel_hi:[1,0]
	v_mov_b32_e32 v132, v130
	v_pk_fma_f32 v[172:173], v[56:57], s[20:21], v[170:171] op_sel:[0,0,1] op_sel_hi:[1,0,0]
	v_pk_fma_f32 v[170:171], v[56:57], s[20:21], v[170:171] op_sel:[0,0,1] op_sel_hi:[1,0,0] neg_lo:[0,0,1] neg_hi:[0,0,1]
	v_pk_add_f32 v[106:107], v[132:133], v[106:107]
	v_pk_fma_f32 v[132:133], v[22:23], s[34:35], v[126:127]
	v_pk_fma_f32 v[138:139], v[22:23], s[34:35], v[126:127] neg_lo:[1,0,0] neg_hi:[1,0,0]
	v_mov_b32_e32 v174, v172
	v_mov_b32_e32 v175, v171
	v_pk_mul_f32 v[82:83], v[82:83], s[38:39] op_sel_hi:[1,0]
	v_mov_b32_e32 v138, v132
	v_pk_fma_f32 v[150:151], v[28:29], s[6:7], v[148:149]
	v_pk_fma_f32 v[152:153], v[28:29], s[6:7], v[148:149] neg_lo:[1,0,0] neg_hi:[1,0,0]
	v_pk_mul_f32 v[154:155], v[54:55], s[26:27]
	v_pk_add_f32 v[164:165], v[174:175], v[164:165]
	v_pk_fma_f32 v[174:175], v[76:77], s[18:19], v[82:83] op_sel:[0,0,1] op_sel_hi:[1,0,0]
	v_pk_fma_f32 v[76:77], v[76:77], s[18:19], v[82:83] op_sel:[0,0,1] op_sel_hi:[1,0,0] neg_lo:[0,0,1] neg_hi:[0,0,1]
	v_pk_mul_f32 v[74:75], v[74:75], s[42:43] op_sel_hi:[1,0]
	v_mov_b32_e32 v152, v150
	v_pk_fma_f32 v[156:157], v[34:35], s[10:11], v[154:155]
	v_pk_fma_f32 v[158:159], v[34:35], s[10:11], v[154:155] neg_lo:[1,0,0] neg_hi:[1,0,0]
	v_pk_add_f32 v[138:139], v[138:139], v[164:165]
	v_mov_b32_e32 v82, v174
	v_mov_b32_e32 v83, v77
	v_pk_fma_f32 v[176:177], v[66:67], s[6:7], v[74:75] op_sel:[0,0,1] op_sel_hi:[1,0,0]
	v_pk_fma_f32 v[66:67], v[66:67], s[6:7], v[74:75] op_sel:[0,0,1] op_sel_hi:[1,0,0] neg_lo:[0,0,1] neg_hi:[0,0,1]
	v_mov_b32_e32 v158, v156
	v_pk_add_f32 v[138:139], v[152:153], v[138:139]
	v_pk_add_f32 v[82:83], v[4:5], v[82:83]
	v_mov_b32_e32 v74, v176
	v_mov_b32_e32 v75, v67
	v_pk_mul_f32 v[64:65], v[64:65], s[40:41] op_sel_hi:[1,0]
	v_pk_add_f32 v[138:139], v[158:159], v[138:139]
	v_pk_mul_f32 v[68:69], v[68:69], s[46:47]
	v_pk_add_f32 v[74:75], v[74:75], v[82:83]
	v_pk_fma_f32 v[82:83], v[56:57], s[14:15], v[64:65] op_sel:[0,0,1] op_sel_hi:[1,0,0]
	v_pk_fma_f32 v[56:57], v[56:57], s[14:15], v[64:65] op_sel:[0,0,1] op_sel_hi:[1,0,0] neg_lo:[0,0,1] neg_hi:[0,0,1]
	ds_write2_b64 v119, v[106:107], v[138:139] offset0:4 offset1:5
	v_pk_fma_f32 v[106:107], v[22:23], s[36:37], v[68:69]
	v_pk_fma_f32 v[138:139], v[22:23], s[36:37], v[68:69] neg_lo:[1,0,0] neg_hi:[1,0,0]
	v_pk_mul_f32 v[62:63], v[62:63], s[26:27]
	v_mov_b32_e32 v64, v82
	v_mov_b32_e32 v65, v57
	;; [unrolled: 1-line block ×3, first 2 shown]
	v_pk_fma_f32 v[152:153], v[28:29], s[10:11], v[62:63]
	v_pk_fma_f32 v[158:159], v[28:29], s[10:11], v[62:63] neg_lo:[1,0,0] neg_hi:[1,0,0]
	v_pk_mul_f32 v[54:55], v[54:55], s[28:29]
	v_pk_add_f32 v[64:65], v[64:65], v[74:75]
	v_mov_b32_e32 v158, v152
	v_pk_fma_f32 v[164:165], v[34:35], s[16:17], v[54:55]
	v_pk_fma_f32 v[74:75], v[34:35], s[16:17], v[54:55] neg_lo:[1,0,0] neg_hi:[1,0,0]
	v_pk_add_f32 v[64:65], v[138:139], v[64:65]
	v_mov_b32_e32 v74, v164
	v_pk_add_f32 v[64:65], v[158:159], v[64:65]
	v_mov_b32_e32 v77, v175
	v_pk_add_f32 v[64:65], v[74:75], v[64:65]
	v_pk_add_f32 v[74:75], v[4:5], v[76:77]
	v_mov_b32_e32 v67, v177
	v_pk_fma_f32 v[68:69], v[22:23], s[36:37], v[68:69] neg_lo:[0,0,1] neg_hi:[0,0,1]
	v_pk_add_f32 v[66:67], v[66:67], v[74:75]
	v_mov_b32_e32 v57, v83
	v_mov_b32_e32 v69, v107
	v_pk_fma_f32 v[62:63], v[28:29], s[10:11], v[62:63] neg_lo:[0,0,1] neg_hi:[0,0,1]
	v_pk_add_f32 v[56:57], v[56:57], v[66:67]
	v_mov_b32_e32 v63, v153
	v_pk_fma_f32 v[54:55], v[34:35], s[16:17], v[54:55] neg_lo:[0,0,1] neg_hi:[0,0,1]
	v_pk_add_f32 v[56:57], v[68:69], v[56:57]
	v_mov_b32_e32 v55, v165
	v_pk_add_f32 v[56:57], v[62:63], v[56:57]
	v_mov_b32_e32 v161, v163
	v_pk_add_f32 v[54:55], v[54:55], v[56:57]
	ds_write2_b64 v119, v[64:65], v[54:55] offset0:6 offset1:7
	v_pk_add_f32 v[64:65], v[4:5], v[160:161]
	v_mov_b32_e32 v167, v169
	v_pk_fma_f32 v[54:55], v[22:23], s[34:35], v[126:127] neg_lo:[0,0,1] neg_hi:[0,0,1]
	v_pk_add_f32 v[64:65], v[166:167], v[64:65]
	v_mov_b32_e32 v171, v173
	v_mov_b32_e32 v55, v133
	v_pk_fma_f32 v[56:57], v[28:29], s[6:7], v[148:149] neg_lo:[0,0,1] neg_hi:[0,0,1]
	v_pk_add_f32 v[64:65], v[170:171], v[64:65]
	v_mov_b32_e32 v135, v137
	v_mov_b32_e32 v57, v151
	v_pk_fma_f32 v[62:63], v[34:35], s[10:11], v[154:155] neg_lo:[0,0,1] neg_hi:[0,0,1]
	v_pk_add_f32 v[54:55], v[54:55], v[64:65]
	v_pk_add_f32 v[66:67], v[4:5], v[134:135]
	v_mov_b32_e32 v141, v143
	v_mov_b32_e32 v63, v157
	v_pk_add_f32 v[54:55], v[56:57], v[54:55]
	v_pk_fma_f32 v[56:57], v[22:23], s[30:31], v[102:103] neg_lo:[0,0,1] neg_hi:[0,0,1]
	v_pk_add_f32 v[66:67], v[140:141], v[66:67]
	v_mov_b32_e32 v145, v147
	v_pk_add_f32 v[54:55], v[62:63], v[54:55]
	v_mov_b32_e32 v57, v105
	v_pk_fma_f32 v[62:63], v[28:29], s[34:35], v[108:109] neg_lo:[0,0,1] neg_hi:[0,0,1]
	v_pk_add_f32 v[66:67], v[144:145], v[66:67]
	v_mov_b32_e32 v63, v111
	v_pk_fma_f32 v[64:65], v[34:35], s[36:37], v[128:129] neg_lo:[0,0,1] neg_hi:[0,0,1]
	v_pk_add_f32 v[56:57], v[56:57], v[66:67]
	v_mov_b32_e32 v65, v131
	v_pk_add_f32 v[56:57], v[62:63], v[56:57]
	v_mov_b32_e32 v99, v97
	v_pk_fma_f32 v[42:43], v[22:23], s[22:23], v[42:43] neg_lo:[0,0,1] neg_hi:[0,0,1]
	v_mov_b32_e32 v61, v59
	v_mov_b32_e32 v13, v7
	v_pk_add_f32 v[56:57], v[64:65], v[56:57]
	v_pk_add_f32 v[64:65], v[4:5], v[98:99]
	v_mov_b32_e32 v43, v41
	v_pk_fma_f32 v[40:41], v[28:29], s[16:17], v[48:49] neg_lo:[0,0,1] neg_hi:[0,0,1]
	v_pk_add_f32 v[48:49], v[4:5], v[60:61]
	v_pk_add_f32 v[4:5], v[4:5], v[12:13]
	v_mov_b32_e32 v17, v15
	v_pk_add_f32 v[4:5], v[16:17], v[4:5]
	v_mov_b32_e32 v21, v19
	v_pk_fma_f32 v[6:7], v[22:23], s[10:11], v[26:27] neg_lo:[0,0,1] neg_hi:[0,0,1]
	v_mov_b32_e32 v113, v121
	v_mov_b32_e32 v73, v71
	v_pk_add_f32 v[4:5], v[20:21], v[4:5]
	v_mov_b32_e32 v7, v25
	ds_write2_b64 v119, v[54:55], v[56:57] offset0:8 offset1:9
	v_pk_fma_f32 v[54:55], v[22:23], s[6:7], v[86:87] neg_lo:[0,0,1] neg_hi:[0,0,1]
	v_pk_add_f32 v[64:65], v[112:113], v[64:65]
	v_mov_b32_e32 v123, v125
	v_pk_add_f32 v[48:49], v[72:73], v[48:49]
	v_mov_b32_e32 v81, v79
	v_pk_add_f32 v[4:5], v[6:7], v[4:5]
	v_pk_fma_f32 v[6:7], v[28:29], s[14:15], v[32:33] neg_lo:[0,0,1] neg_hi:[0,0,1]
	v_mov_b32_e32 v55, v85
	v_pk_fma_f32 v[56:57], v[28:29], s[20:21], v[90:91] neg_lo:[0,0,1] neg_hi:[0,0,1]
	v_pk_add_f32 v[64:65], v[122:123], v[64:65]
	v_pk_add_f32 v[48:49], v[80:81], v[48:49]
	v_mov_b32_e32 v7, v31
	v_mov_b32_e32 v57, v89
	v_pk_fma_f32 v[62:63], v[34:35], s[14:15], v[94:95] neg_lo:[0,0,1] neg_hi:[0,0,1]
	v_pk_add_f32 v[54:55], v[54:55], v[64:65]
	v_mov_b32_e32 v41, v47
	v_pk_fma_f32 v[46:47], v[34:35], s[6:7], v[52:53] neg_lo:[0,0,1] neg_hi:[0,0,1]
	v_pk_add_f32 v[42:43], v[42:43], v[48:49]
	v_pk_add_f32 v[4:5], v[6:7], v[4:5]
	v_pk_fma_f32 v[6:7], v[34:35], s[18:19], v[38:39] neg_lo:[0,0,1] neg_hi:[0,0,1]
	v_mov_b32_e32 v63, v93
	v_pk_add_f32 v[54:55], v[56:57], v[54:55]
	v_mov_b32_e32 v47, v51
	v_pk_add_f32 v[40:41], v[40:41], v[42:43]
	;; [unrolled: 2-line block ×3, first 2 shown]
	v_pk_add_f32 v[40:41], v[46:47], v[40:41]
	v_pk_add_f32 v[4:5], v[6:7], v[4:5]
	ds_write2_b64 v119, v[54:55], v[40:41] offset0:10 offset1:11
	ds_write_b64 v119, v[4:5] offset:96
.LBB0_13:
	s_or_b64 exec, exec, s[4:5]
	s_waitcnt lgkmcnt(0)
	s_barrier
	ds_read2_b64 v[4:7], v101 offset1:13
	ds_read_b64 v[12:13], v101 offset:208
	s_mov_b32 s4, 0x3f5db3d7
	s_waitcnt lgkmcnt(1)
	v_pk_mul_f32 v[0:1], v[0:1], v[6:7]
	s_nop 0
	v_pk_fma_f32 v[14:15], v[10:11], v[6:7], v[0:1] op_sel:[0,0,1] op_sel_hi:[1,1,0]
	v_pk_fma_f32 v[0:1], v[10:11], v[6:7], v[0:1] op_sel:[0,0,1] op_sel_hi:[1,1,0] neg_lo:[0,0,1] neg_hi:[0,0,1]
	s_nop 0
	v_mov_b32_e32 v15, v1
	s_waitcnt lgkmcnt(0)
	v_pk_mul_f32 v[0:1], v[2:3], v[12:13]
	s_nop 0
	v_pk_fma_f32 v[2:3], v[8:9], v[12:13], v[0:1] op_sel:[0,0,1] op_sel_hi:[1,1,0]
	v_pk_fma_f32 v[0:1], v[8:9], v[12:13], v[0:1] op_sel:[0,0,1] op_sel_hi:[1,1,0] neg_lo:[0,0,1] neg_hi:[0,0,1]
	s_nop 0
	v_mov_b32_e32 v3, v1
	v_pk_add_f32 v[0:1], v[4:5], v[14:15]
	v_pk_add_f32 v[6:7], v[14:15], v[2:3]
	;; [unrolled: 1-line block ×3, first 2 shown]
	v_pk_add_f32 v[2:3], v[14:15], v[2:3] neg_lo:[0,1] neg_hi:[0,1]
	v_pk_fma_f32 v[4:5], -0.5, v[6:7], v[4:5] op_sel_hi:[0,1,1]
	v_pk_mul_f32 v[2:3], v[2:3], s[4:5] op_sel_hi:[1,0]
	s_nop 0
	v_pk_add_f32 v[6:7], v[4:5], v[2:3] op_sel:[0,1] op_sel_hi:[1,0] neg_lo:[0,1] neg_hi:[0,1]
	v_pk_add_f32 v[2:3], v[4:5], v[2:3] op_sel:[0,1] op_sel_hi:[1,0]
	v_mov_b32_e32 v4, v6
	v_mov_b32_e32 v5, v3
	;; [unrolled: 1-line block ×3, first 2 shown]
	ds_write2_b64 v100, v[0:1], v[4:5] offset1:13
	ds_write_b64 v100, v[2:3] offset:208
	s_waitcnt lgkmcnt(0)
	s_barrier
	s_and_b64 exec, exec, vcc
	s_cbranch_execz .LBB0_15
; %bb.14:
	global_load_dwordx2 v[10:11], v115, s[8:9]
	global_load_dwordx2 v[12:13], v115, s[8:9] offset:24
	global_load_dwordx2 v[14:15], v115, s[8:9] offset:48
	;; [unrolled: 1-line block ×4, first 2 shown]
	ds_read_b64 v[22:23], v100
	global_load_dwordx2 v[26:27], v115, s[8:9] offset:120
	global_load_dwordx2 v[28:29], v115, s[8:9] offset:144
	;; [unrolled: 1-line block ×3, first 2 shown]
	v_lshl_add_u32 v38, v118, 3, v115
	ds_read2_b64 v[2:5], v38 offset0:3 offset1:6
	ds_read2_b64 v[6:9], v38 offset0:9 offset1:12
	v_mad_u64_u32 v[20:21], s[4:5], s2, v44, 0
	v_mad_u64_u32 v[24:25], s[6:7], s0, v117, 0
	v_mov_b32_e32 v32, v21
	v_mov_b32_e32 v34, v25
	v_mad_u64_u32 v[32:33], s[6:7], s3, v44, v[32:33]
	v_mov_b32_e32 v0, s12
	v_mov_b32_e32 v1, s13
	;; [unrolled: 3-line block ×3, first 2 shown]
	v_lshl_add_u64 v[0:1], v[20:21], 3, v[0:1]
	v_lshl_add_u64 v[20:21], v[24:25], 3, v[0:1]
	s_mul_i32 s2, s1, 24
	v_mad_u64_u32 v[24:25], s[6:7], s0, 24, v[20:21]
	s_mov_b32 s4, 0x1a41a41a
	v_add_u32_e32 v25, s2, v25
	s_mov_b32 s5, 0x3f9a41a4
	v_mad_u64_u32 v[32:33], s[6:7], s0, 24, v[24:25]
	v_add_u32_e32 v33, s2, v33
	v_mad_u64_u32 v[34:35], s[6:7], s0, 24, v[32:33]
	v_add_u32_e32 v35, s2, v35
	s_mul_i32 s3, s1, 48
	s_waitcnt vmcnt(7) lgkmcnt(2)
	v_mul_f32_e32 v36, v23, v11
	s_waitcnt vmcnt(6) lgkmcnt(1)
	v_mul_f32_e32 v37, v3, v13
	v_mul_f32_e32 v11, v22, v11
	;; [unrolled: 1-line block ×3, first 2 shown]
	s_waitcnt vmcnt(4) lgkmcnt(0)
	v_mul_f32_e32 v40, v7, v17
	v_mul_f32_e32 v17, v6, v17
	v_fmac_f32_e32 v36, v22, v10
	v_fmac_f32_e32 v37, v2, v12
	v_fma_f32 v10, v10, v23, -v11
	v_fma_f32 v11, v12, v3, -v13
	v_fmac_f32_e32 v40, v6, v16
	v_fma_f32 v22, v16, v7, -v17
	v_cvt_f64_f32_e32 v[2:3], v36
	v_cvt_f64_f32_e32 v[6:7], v37
	global_load_dwordx2 v[36:37], v115, s[8:9] offset:192
	v_mul_f32_e32 v39, v5, v15
	v_mul_f32_e32 v15, v4, v15
	v_fmac_f32_e32 v39, v4, v14
	v_fma_f32 v14, v14, v5, -v15
	v_cvt_f64_f32_e32 v[4:5], v10
	s_waitcnt vmcnt(4)
	v_mul_f32_e32 v41, v9, v19
	v_cvt_f64_f32_e32 v[10:11], v11
	v_cvt_f64_f32_e32 v[12:13], v39
	;; [unrolled: 1-line block ×5, first 2 shown]
	v_mul_f64 v[2:3], v[2:3], s[4:5]
	v_mul_f64 v[4:5], v[4:5], s[4:5]
	;; [unrolled: 1-line block ×8, first 2 shown]
	v_cvt_f32_f64_e32 v2, v[2:3]
	v_cvt_f32_f64_e32 v3, v[4:5]
	v_fmac_f32_e32 v41, v8, v18
	v_cvt_f32_f64_e32 v4, v[6:7]
	v_cvt_f32_f64_e32 v5, v[10:11]
	;; [unrolled: 1-line block ×6, first 2 shown]
	global_store_dwordx2 v[20:21], v[2:3], off
	global_store_dwordx2 v[24:25], v[4:5], off
	;; [unrolled: 1-line block ×4, first 2 shown]
	v_cvt_f64_f32_e32 v[2:3], v41
	v_mul_f64 v[2:3], v[2:3], s[4:5]
	v_cvt_f32_f64_e32 v6, v[2:3]
	v_mul_f32_e32 v2, v8, v19
	v_fma_f32 v2, v18, v9, -v2
	v_cvt_f64_f32_e32 v[2:3], v2
	global_load_dwordx2 v[10:11], v115, s[8:9] offset:216
	v_mul_f64 v[2:3], v[2:3], s[4:5]
	v_mad_u64_u32 v[8:9], s[6:7], s0, v116, 0
	v_cvt_f32_f64_e32 v7, v[2:3]
	v_mov_b32_e32 v2, v9
	v_mad_u64_u32 v[12:13], s[6:7], s1, v116, v[2:3]
	v_mov_b32_e32 v9, v12
	v_lshl_add_u64 v[8:9], v[8:9], 3, v[0:1]
	global_store_dwordx2 v[8:9], v[6:7], off
	global_load_dwordx2 v[6:7], v115, s[8:9] offset:240
	ds_read2_b64 v[2:5], v38 offset0:15 offset1:18
	global_load_dwordx2 v[14:15], v115, s[8:9] offset:264
	global_load_dwordx2 v[16:17], v115, s[8:9] offset:288
	v_mad_u64_u32 v[12:13], s[6:7], s0, 48, v[34:35]
	s_waitcnt vmcnt(12) lgkmcnt(0)
	v_mul_f32_e32 v8, v3, v27
	v_fmac_f32_e32 v8, v2, v26
	v_mul_f32_e32 v2, v2, v27
	v_fma_f32 v2, v26, v3, -v2
	v_cvt_f64_f32_e32 v[8:9], v8
	v_cvt_f64_f32_e32 v[2:3], v2
	v_mul_f64 v[8:9], v[8:9], s[4:5]
	v_mul_f64 v[2:3], v[2:3], s[4:5]
	v_cvt_f32_f64_e32 v8, v[8:9]
	v_cvt_f32_f64_e32 v9, v[2:3]
	s_waitcnt vmcnt(11)
	v_mul_f32_e32 v2, v5, v29
	v_fmac_f32_e32 v2, v4, v28
	v_cvt_f64_f32_e32 v[2:3], v2
	v_add_u32_e32 v13, s3, v13
	v_mul_f64 v[2:3], v[2:3], s[4:5]
	global_store_dwordx2 v[12:13], v[8:9], off
	v_cvt_f32_f64_e32 v8, v[2:3]
	v_mul_f32_e32 v2, v4, v29
	v_fma_f32 v2, v28, v5, -v2
	v_cvt_f64_f32_e32 v[2:3], v2
	v_mul_f64 v[2:3], v[2:3], s[4:5]
	v_cvt_f32_f64_e32 v9, v[2:3]
	ds_read2_b64 v[2:5], v38 offset0:21 offset1:24
	v_mad_u64_u32 v[12:13], s[6:7], s0, 24, v[12:13]
	v_add_u32_e32 v13, s2, v13
	global_store_dwordx2 v[12:13], v[8:9], off
	s_waitcnt vmcnt(12) lgkmcnt(0)
	v_mul_f32_e32 v8, v3, v31
	v_fmac_f32_e32 v8, v2, v30
	v_mul_f32_e32 v2, v2, v31
	v_fma_f32 v2, v30, v3, -v2
	v_cvt_f64_f32_e32 v[8:9], v8
	v_cvt_f64_f32_e32 v[2:3], v2
	v_mul_f64 v[8:9], v[8:9], s[4:5]
	v_mul_f64 v[2:3], v[2:3], s[4:5]
	v_cvt_f32_f64_e32 v8, v[8:9]
	v_cvt_f32_f64_e32 v9, v[2:3]
	s_waitcnt vmcnt(11)
	v_mul_f32_e32 v2, v5, v37
	v_fmac_f32_e32 v2, v4, v36
	v_mad_u64_u32 v[12:13], s[6:7], s0, 24, v[12:13]
	v_cvt_f64_f32_e32 v[2:3], v2
	v_add_u32_e32 v13, s2, v13
	v_mul_f64 v[2:3], v[2:3], s[4:5]
	global_store_dwordx2 v[12:13], v[8:9], off
	v_cvt_f32_f64_e32 v8, v[2:3]
	v_mul_f32_e32 v2, v4, v37
	v_fma_f32 v2, v36, v5, -v2
	v_cvt_f64_f32_e32 v[2:3], v2
	v_mul_f64 v[2:3], v[2:3], s[4:5]
	v_cvt_f32_f64_e32 v9, v[2:3]
	v_mad_u64_u32 v[18:19], s[6:7], s0, v114, 0
	ds_read2_b64 v[2:5], v38 offset0:27 offset1:30
	v_mov_b32_e32 v20, v19
	v_mad_u64_u32 v[20:21], s[6:7], s1, v114, v[20:21]
	v_mov_b32_e32 v19, v20
	v_lshl_add_u64 v[18:19], v[18:19], 3, v[0:1]
	global_store_dwordx2 v[18:19], v[8:9], off
	s_waitcnt vmcnt(8) lgkmcnt(0)
	v_mul_f32_e32 v8, v3, v11
	v_fmac_f32_e32 v8, v2, v10
	v_mul_f32_e32 v2, v2, v11
	v_fma_f32 v2, v10, v3, -v2
	v_cvt_f64_f32_e32 v[8:9], v8
	v_cvt_f64_f32_e32 v[2:3], v2
	v_mul_f64 v[8:9], v[8:9], s[4:5]
	v_mul_f64 v[2:3], v[2:3], s[4:5]
	v_cvt_f32_f64_e32 v8, v[8:9]
	v_cvt_f32_f64_e32 v9, v[2:3]
	v_mad_u64_u32 v[10:11], s[6:7], s0, 48, v[12:13]
	s_waitcnt vmcnt(6)
	v_mul_f32_e32 v2, v5, v7
	v_fmac_f32_e32 v2, v4, v6
	v_cvt_f64_f32_e32 v[2:3], v2
	v_add_u32_e32 v11, s3, v11
	v_mul_f64 v[2:3], v[2:3], s[4:5]
	global_store_dwordx2 v[10:11], v[8:9], off
	v_cvt_f32_f64_e32 v8, v[2:3]
	v_mul_f32_e32 v2, v4, v7
	v_fma_f32 v2, v6, v5, -v2
	v_cvt_f64_f32_e32 v[2:3], v2
	v_mul_f64 v[2:3], v[2:3], s[4:5]
	v_cvt_f32_f64_e32 v9, v[2:3]
	ds_read2_b64 v[2:5], v38 offset0:33 offset1:36
	v_mad_u64_u32 v[6:7], s[6:7], s0, 24, v[10:11]
	v_add_u32_e32 v7, s2, v7
	global_store_dwordx2 v[6:7], v[8:9], off
	s_waitcnt vmcnt(7) lgkmcnt(0)
	v_mul_f32_e32 v8, v3, v15
	v_fmac_f32_e32 v8, v2, v14
	v_mul_f32_e32 v2, v2, v15
	v_fma_f32 v2, v14, v3, -v2
	v_cvt_f64_f32_e32 v[8:9], v8
	v_cvt_f64_f32_e32 v[2:3], v2
	v_mul_f64 v[8:9], v[8:9], s[4:5]
	v_mul_f64 v[2:3], v[2:3], s[4:5]
	v_cvt_f32_f64_e32 v8, v[8:9]
	v_cvt_f32_f64_e32 v9, v[2:3]
	v_mad_u64_u32 v[2:3], s[6:7], s0, 24, v[6:7]
	v_add_u32_e32 v3, s2, v3
	global_store_dwordx2 v[2:3], v[8:9], off
	s_waitcnt vmcnt(7)
	v_mul_f32_e32 v2, v5, v17
	v_fmac_f32_e32 v2, v4, v16
	v_cvt_f64_f32_e32 v[2:3], v2
	v_mul_f64 v[2:3], v[2:3], s[4:5]
	v_cvt_f32_f64_e32 v2, v[2:3]
	v_mul_f32_e32 v3, v4, v17
	v_fma_f32 v3, v16, v5, -v3
	v_cvt_f64_f32_e32 v[4:5], v3
	v_mul_f64 v[4:5], v[4:5], s[4:5]
	v_cvt_f32_f64_e32 v3, v[4:5]
	v_mad_u64_u32 v[4:5], s[2:3], s0, v45, 0
	v_mov_b32_e32 v6, v5
	v_mad_u64_u32 v[6:7], s[0:1], s1, v45, v[6:7]
	v_mov_b32_e32 v5, v6
	v_lshl_add_u64 v[0:1], v[4:5], 3, v[0:1]
	global_store_dwordx2 v[0:1], v[2:3], off
.LBB0_15:
	s_endpgm
	.section	.rodata,"a",@progbits
	.p2align	6, 0x0
	.amdhsa_kernel bluestein_single_back_len39_dim1_sp_op_CI_CI
		.amdhsa_group_segment_fixed_size 5928
		.amdhsa_private_segment_fixed_size 0
		.amdhsa_kernarg_size 104
		.amdhsa_user_sgpr_count 2
		.amdhsa_user_sgpr_dispatch_ptr 0
		.amdhsa_user_sgpr_queue_ptr 0
		.amdhsa_user_sgpr_kernarg_segment_ptr 1
		.amdhsa_user_sgpr_dispatch_id 0
		.amdhsa_user_sgpr_kernarg_preload_length 0
		.amdhsa_user_sgpr_kernarg_preload_offset 0
		.amdhsa_user_sgpr_private_segment_size 0
		.amdhsa_uses_dynamic_stack 0
		.amdhsa_enable_private_segment 0
		.amdhsa_system_sgpr_workgroup_id_x 1
		.amdhsa_system_sgpr_workgroup_id_y 0
		.amdhsa_system_sgpr_workgroup_id_z 0
		.amdhsa_system_sgpr_workgroup_info 0
		.amdhsa_system_vgpr_workitem_id 0
		.amdhsa_next_free_vgpr 180
		.amdhsa_next_free_sgpr 48
		.amdhsa_accum_offset 180
		.amdhsa_reserve_vcc 1
		.amdhsa_float_round_mode_32 0
		.amdhsa_float_round_mode_16_64 0
		.amdhsa_float_denorm_mode_32 3
		.amdhsa_float_denorm_mode_16_64 3
		.amdhsa_dx10_clamp 1
		.amdhsa_ieee_mode 1
		.amdhsa_fp16_overflow 0
		.amdhsa_tg_split 0
		.amdhsa_exception_fp_ieee_invalid_op 0
		.amdhsa_exception_fp_denorm_src 0
		.amdhsa_exception_fp_ieee_div_zero 0
		.amdhsa_exception_fp_ieee_overflow 0
		.amdhsa_exception_fp_ieee_underflow 0
		.amdhsa_exception_fp_ieee_inexact 0
		.amdhsa_exception_int_div_zero 0
	.end_amdhsa_kernel
	.text
.Lfunc_end0:
	.size	bluestein_single_back_len39_dim1_sp_op_CI_CI, .Lfunc_end0-bluestein_single_back_len39_dim1_sp_op_CI_CI
                                        ; -- End function
	.section	.AMDGPU.csdata,"",@progbits
; Kernel info:
; codeLenInByte = 8628
; NumSgprs: 54
; NumVgprs: 180
; NumAgprs: 0
; TotalNumVgprs: 180
; ScratchSize: 0
; MemoryBound: 0
; FloatMode: 240
; IeeeMode: 1
; LDSByteSize: 5928 bytes/workgroup (compile time only)
; SGPRBlocks: 6
; VGPRBlocks: 22
; NumSGPRsForWavesPerEU: 54
; NumVGPRsForWavesPerEU: 180
; AccumOffset: 180
; Occupancy: 2
; WaveLimiterHint : 1
; COMPUTE_PGM_RSRC2:SCRATCH_EN: 0
; COMPUTE_PGM_RSRC2:USER_SGPR: 2
; COMPUTE_PGM_RSRC2:TRAP_HANDLER: 0
; COMPUTE_PGM_RSRC2:TGID_X_EN: 1
; COMPUTE_PGM_RSRC2:TGID_Y_EN: 0
; COMPUTE_PGM_RSRC2:TGID_Z_EN: 0
; COMPUTE_PGM_RSRC2:TIDIG_COMP_CNT: 0
; COMPUTE_PGM_RSRC3_GFX90A:ACCUM_OFFSET: 44
; COMPUTE_PGM_RSRC3_GFX90A:TG_SPLIT: 0
	.text
	.p2alignl 6, 3212836864
	.fill 256, 4, 3212836864
	.type	__hip_cuid_cf92a836613fb03c,@object ; @__hip_cuid_cf92a836613fb03c
	.section	.bss,"aw",@nobits
	.globl	__hip_cuid_cf92a836613fb03c
__hip_cuid_cf92a836613fb03c:
	.byte	0                               ; 0x0
	.size	__hip_cuid_cf92a836613fb03c, 1

	.ident	"AMD clang version 19.0.0git (https://github.com/RadeonOpenCompute/llvm-project roc-6.4.0 25133 c7fe45cf4b819c5991fe208aaa96edf142730f1d)"
	.section	".note.GNU-stack","",@progbits
	.addrsig
	.addrsig_sym __hip_cuid_cf92a836613fb03c
	.amdgpu_metadata
---
amdhsa.kernels:
  - .agpr_count:     0
    .args:
      - .actual_access:  read_only
        .address_space:  global
        .offset:         0
        .size:           8
        .value_kind:     global_buffer
      - .actual_access:  read_only
        .address_space:  global
        .offset:         8
        .size:           8
        .value_kind:     global_buffer
      - .actual_access:  read_only
        .address_space:  global
        .offset:         16
        .size:           8
        .value_kind:     global_buffer
      - .actual_access:  read_only
        .address_space:  global
        .offset:         24
        .size:           8
        .value_kind:     global_buffer
      - .actual_access:  read_only
        .address_space:  global
        .offset:         32
        .size:           8
        .value_kind:     global_buffer
      - .offset:         40
        .size:           8
        .value_kind:     by_value
      - .address_space:  global
        .offset:         48
        .size:           8
        .value_kind:     global_buffer
      - .address_space:  global
        .offset:         56
        .size:           8
        .value_kind:     global_buffer
      - .address_space:  global
        .offset:         64
        .size:           8
        .value_kind:     global_buffer
      - .address_space:  global
        .offset:         72
        .size:           8
        .value_kind:     global_buffer
      - .offset:         80
        .size:           4
        .value_kind:     by_value
      - .address_space:  global
        .offset:         88
        .size:           8
        .value_kind:     global_buffer
      - .address_space:  global
        .offset:         96
        .size:           8
        .value_kind:     global_buffer
    .group_segment_fixed_size: 5928
    .kernarg_segment_align: 8
    .kernarg_segment_size: 104
    .language:       OpenCL C
    .language_version:
      - 2
      - 0
    .max_flat_workgroup_size: 247
    .name:           bluestein_single_back_len39_dim1_sp_op_CI_CI
    .private_segment_fixed_size: 0
    .sgpr_count:     54
    .sgpr_spill_count: 0
    .symbol:         bluestein_single_back_len39_dim1_sp_op_CI_CI.kd
    .uniform_work_group_size: 1
    .uses_dynamic_stack: false
    .vgpr_count:     180
    .vgpr_spill_count: 0
    .wavefront_size: 64
amdhsa.target:   amdgcn-amd-amdhsa--gfx950
amdhsa.version:
  - 1
  - 2
...

	.end_amdgpu_metadata
